;; amdgpu-corpus repo=ROCm/rocFFT kind=compiled arch=gfx906 opt=O3
	.text
	.amdgcn_target "amdgcn-amd-amdhsa--gfx906"
	.amdhsa_code_object_version 6
	.protected	bluestein_single_back_len224_dim1_dp_op_CI_CI ; -- Begin function bluestein_single_back_len224_dim1_dp_op_CI_CI
	.globl	bluestein_single_back_len224_dim1_dp_op_CI_CI
	.p2align	8
	.type	bluestein_single_back_len224_dim1_dp_op_CI_CI,@function
bluestein_single_back_len224_dim1_dp_op_CI_CI: ; @bluestein_single_back_len224_dim1_dp_op_CI_CI
; %bb.0:
	s_load_dwordx4 s[12:15], s[4:5], 0x28
	s_mov_b64 s[38:39], s[2:3]
	v_lshrrev_b32_e32 v1, 4, v0
	s_mov_b64 s[36:37], s[0:1]
	v_lshl_or_b32 v144, s6, 2, v1
	v_mov_b32_e32 v145, 0
	s_add_u32 s36, s36, s7
	s_waitcnt lgkmcnt(0)
	v_cmp_gt_u64_e32 vcc, s[12:13], v[144:145]
	s_addc_u32 s37, s37, 0
	s_and_saveexec_b64 s[0:1], vcc
	s_cbranch_execz .LBB0_2
; %bb.1:
	s_load_dwordx4 s[8:11], s[4:5], 0x0
	s_load_dwordx4 s[16:19], s[4:5], 0x18
	s_load_dwordx2 s[12:13], s[4:5], 0x38
	v_mul_u32_u24_e32 v170, 0xe0, v1
	v_and_b32_e32 v16, 15, v0
	v_lshlrev_b32_e32 v196, 4, v16
	s_waitcnt lgkmcnt(0)
	s_load_dwordx4 s[0:3], s[18:19], 0x0
	v_or_b32_e32 v6, v170, v16
	v_lshlrev_b32_e32 v17, 4, v6
	v_lshl_or_b32 v246, v170, 4, v196
	s_mov_b32 s18, 0xaaaaaaaa
	s_waitcnt lgkmcnt(0)
	v_mad_u64_u32 v[3:4], s[4:5], s2, v144, 0
	s_mov_b32 s20, 0x5476071b
	s_mov_b32 s22, 0xb247c609
	v_mov_b32_e32 v1, v4
	v_mad_u64_u32 v[1:2], s[2:3], s3, v144, v[1:2]
	s_mov_b32 s19, 0xbff2aaaa
	s_mov_b32 s21, 0x3fe77f67
	v_mov_b32_e32 v4, v1
	buffer_store_dword v3, off, s[36:39], 0 offset:32 ; 4-byte Folded Spill
	s_nop 0
	buffer_store_dword v4, off, s[36:39], 0 offset:36 ; 4-byte Folded Spill
	s_load_dwordx4 s[4:7], s[16:17], 0x0
	global_load_dwordx4 v[28:31], v196, s[8:9]
	s_mov_b32 s17, 0xbfe11646
	s_mov_b32 s16, 0xe976ee23
	;; [unrolled: 1-line block ×3, first 2 shown]
	s_waitcnt lgkmcnt(0)
	v_mad_u64_u32 v[1:2], s[2:3], s6, v144, 0
	s_mov_b32 s24, s20
	s_mov_b32 s23, 0x3fd5d0dc
	;; [unrolled: 1-line block ×7, first 2 shown]
	v_mov_b32_e32 v132, 4
	v_or_b32_e32 v168, 48, v16
	v_mul_lo_u16_e32 v124, 37, v168
	v_lshrrev_b16_e32 v25, 8, v124
	v_or_b32_e32 v128, 64, v16
	v_mul_lo_u16_e32 v129, 0x93, v128
	v_lshrrev_b16_e32 v27, 10, v129
	;; [unrolled: 3-line block ×4, first 2 shown]
	v_mov_b32_e32 v169, v145
	v_mad_u64_u32 v[2:3], s[2:3], s7, v144, v[2:3]
	v_mad_u64_u32 v[3:4], s[6:7], s4, v16, 0
	s_add_u32 s2, s8, 0xe00
	s_addc_u32 s3, s9, 0
	v_mov_b32_e32 v0, v4
	v_mad_u64_u32 v[4:5], s[6:7], s5, v16, v[0:1]
	v_lshlrev_b64 v[0:1], 4, v[1:2]
	s_lshl_b64 s[6:7], s[4:5], 9
	v_add_co_u32_e32 v2, vcc, s14, v0
	v_mov_b32_e32 v0, s15
	v_addc_co_u32_e32 v5, vcc, v0, v1, vcc
	v_lshlrev_b64 v[0:1], 4, v[3:4]
	v_mov_b32_e32 v10, s7
	v_add_co_u32_e32 v8, vcc, v2, v0
	v_addc_co_u32_e32 v9, vcc, v5, v1, vcc
	global_load_dwordx4 v[0:3], v[8:9], off
	v_add_co_u32_e32 v8, vcc, s6, v8
	v_addc_co_u32_e32 v9, vcc, v9, v10, vcc
	s_mulk_i32 s5, 0xf500
	v_or_b32_e32 v144, 16, v16
	s_waitcnt vmcnt(0)
	v_mul_f64 v[4:5], v[2:3], v[30:31]
	v_fma_f64 v[4:5], v[0:1], v[28:29], v[4:5]
	v_mul_f64 v[0:1], v[0:1], v[30:31]
	v_fma_f64 v[6:7], v[2:3], v[28:29], -v[0:1]
	ds_write_b128 v17, v[4:7]
	global_load_dwordx4 v[0:3], v[8:9], off
	global_load_dwordx4 v[32:35], v196, s[8:9] offset:512
	v_add_co_u32_e32 v8, vcc, s6, v8
	v_addc_co_u32_e32 v9, vcc, v9, v10, vcc
	s_waitcnt vmcnt(0)
	v_mul_f64 v[4:5], v[2:3], v[34:35]
	v_fma_f64 v[4:5], v[0:1], v[32:33], v[4:5]
	v_mul_f64 v[0:1], v[0:1], v[34:35]
	v_fma_f64 v[6:7], v[2:3], v[32:33], -v[0:1]
	ds_write_b128 v246, v[4:7] offset:512
	global_load_dwordx4 v[0:3], v[8:9], off
	global_load_dwordx4 v[36:39], v196, s[8:9] offset:1024
	v_add_co_u32_e32 v8, vcc, s6, v8
	v_addc_co_u32_e32 v9, vcc, v9, v10, vcc
	s_waitcnt vmcnt(0)
	v_mul_f64 v[4:5], v[2:3], v[38:39]
	v_fma_f64 v[4:5], v[0:1], v[36:37], v[4:5]
	v_mul_f64 v[0:1], v[0:1], v[38:39]
	v_fma_f64 v[6:7], v[2:3], v[36:37], -v[0:1]
	ds_write_b128 v246, v[4:7] offset:1024
	;; [unrolled: 10-line block ×5, first 2 shown]
	global_load_dwordx4 v[0:3], v[8:9], off
	global_load_dwordx4 v[52:55], v196, s[8:9] offset:3072
	s_waitcnt vmcnt(0)
	v_mul_f64 v[4:5], v[2:3], v[54:55]
	v_fma_f64 v[4:5], v[0:1], v[52:53], v[4:5]
	v_mul_f64 v[0:1], v[0:1], v[54:55]
	v_fma_f64 v[6:7], v[2:3], v[52:53], -v[0:1]
	v_mov_b32_e32 v0, 0xfffff500
	v_mad_u64_u32 v[8:9], s[14:15], s4, v0, v[8:9]
	s_sub_i32 s4, s5, s4
	s_mov_b32 s14, 0x429ad128
	v_add_u32_e32 v9, s4, v9
	s_mov_b32 s4, 0x36b3c0b5
	ds_write_b128 v246, v[4:7] offset:3072
	global_load_dwordx4 v[0:3], v[8:9], off
	global_load_dwordx4 v[252:255], v196, s[8:9] offset:256
	v_add_co_u32_e32 v8, vcc, s6, v8
	v_addc_co_u32_e32 v9, vcc, v9, v10, vcc
	s_mov_b32 s5, 0x3fac98ee
	s_mov_b32 s15, 0xbfebfeb5
	;; [unrolled: 1-line block ×3, first 2 shown]
	s_waitcnt vmcnt(0)
	v_mul_f64 v[4:5], v[2:3], v[254:255]
	v_fma_f64 v[4:5], v[0:1], v[252:253], v[4:5]
	v_mul_f64 v[0:1], v[0:1], v[254:255]
	v_fma_f64 v[6:7], v[2:3], v[252:253], -v[0:1]
	ds_write_b128 v246, v[4:7] offset:256
	global_load_dwordx4 v[0:3], v[8:9], off
	global_load_dwordx4 v[11:14], v196, s[8:9] offset:768
	v_add_co_u32_e32 v8, vcc, s6, v8
	v_addc_co_u32_e32 v9, vcc, v9, v10, vcc
	s_waitcnt vmcnt(0)
	buffer_store_dword v11, off, s[36:39], 0 offset:88 ; 4-byte Folded Spill
	s_nop 0
	buffer_store_dword v12, off, s[36:39], 0 offset:92 ; 4-byte Folded Spill
	buffer_store_dword v13, off, s[36:39], 0 offset:96 ; 4-byte Folded Spill
	buffer_store_dword v14, off, s[36:39], 0 offset:100 ; 4-byte Folded Spill
	v_mul_f64 v[4:5], v[2:3], v[13:14]
	v_fma_f64 v[4:5], v[0:1], v[11:12], v[4:5]
	v_mul_f64 v[0:1], v[0:1], v[13:14]
	v_fma_f64 v[6:7], v[2:3], v[11:12], -v[0:1]
	ds_write_b128 v246, v[4:7] offset:768
	global_load_dwordx4 v[0:3], v[8:9], off
	global_load_dwordx4 v[11:14], v196, s[8:9] offset:1280
	v_add_co_u32_e32 v8, vcc, s6, v8
	v_addc_co_u32_e32 v9, vcc, v9, v10, vcc
	s_waitcnt vmcnt(0)
	buffer_store_dword v11, off, s[36:39], 0 offset:56 ; 4-byte Folded Spill
	s_nop 0
	buffer_store_dword v12, off, s[36:39], 0 offset:60 ; 4-byte Folded Spill
	buffer_store_dword v13, off, s[36:39], 0 offset:64 ; 4-byte Folded Spill
	buffer_store_dword v14, off, s[36:39], 0 offset:68 ; 4-byte Folded Spill
	;; [unrolled: 15-line block ×3, first 2 shown]
	v_mul_f64 v[4:5], v[2:3], v[13:14]
	v_fma_f64 v[4:5], v[0:1], v[11:12], v[4:5]
	v_mul_f64 v[0:1], v[0:1], v[13:14]
	v_fma_f64 v[6:7], v[2:3], v[11:12], -v[0:1]
	ds_write_b128 v246, v[4:7] offset:1792
	global_load_dwordx4 v[0:3], v[8:9], off
	global_load_dwordx4 v[11:14], v196, s[8:9] offset:2304
	s_waitcnt vmcnt(0)
	buffer_store_dword v11, off, s[36:39], 0 offset:16 ; 4-byte Folded Spill
	s_nop 0
	buffer_store_dword v12, off, s[36:39], 0 offset:20 ; 4-byte Folded Spill
	buffer_store_dword v13, off, s[36:39], 0 offset:24 ; 4-byte Folded Spill
	;; [unrolled: 1-line block ×3, first 2 shown]
	v_mul_f64 v[4:5], v[2:3], v[13:14]
	v_fma_f64 v[4:5], v[0:1], v[11:12], v[4:5]
	v_mul_f64 v[0:1], v[0:1], v[13:14]
	v_fma_f64 v[6:7], v[2:3], v[11:12], -v[0:1]
	ds_write_b128 v246, v[4:7] offset:2304
	v_add_co_u32_e32 v4, vcc, s6, v8
	v_addc_co_u32_e32 v5, vcc, v9, v10, vcc
	global_load_dwordx4 v[0:3], v[4:5], off
	global_load_dwordx4 v[11:14], v196, s[8:9] offset:2816
	s_waitcnt vmcnt(0)
	buffer_store_dword v11, off, s[36:39], 0 ; 4-byte Folded Spill
	s_nop 0
	buffer_store_dword v12, off, s[36:39], 0 offset:4 ; 4-byte Folded Spill
	buffer_store_dword v13, off, s[36:39], 0 offset:8 ; 4-byte Folded Spill
	;; [unrolled: 1-line block ×3, first 2 shown]
	v_mul_f64 v[6:7], v[2:3], v[13:14]
	v_fma_f64 v[56:57], v[0:1], v[11:12], v[6:7]
	v_mul_f64 v[0:1], v[0:1], v[13:14]
	v_fma_f64 v[58:59], v[2:3], v[11:12], -v[0:1]
	v_add_co_u32_e32 v0, vcc, s6, v4
	v_addc_co_u32_e32 v1, vcc, v5, v10, vcc
	s_mov_b32 s6, 0x37e14327
	s_mov_b32 s7, 0x3fe948f6
	ds_write_b128 v246, v[56:59] offset:2816
	global_load_dwordx4 v[56:59], v[0:1], off
	global_load_dwordx4 v[2:5], v196, s[8:9] offset:3328
	s_waitcnt vmcnt(0)
	v_mul_f64 v[0:1], v[58:59], v[4:5]
	v_fma_f64 v[60:61], v[56:57], v[2:3], v[0:1]
	v_mul_f64 v[0:1], v[56:57], v[4:5]
	buffer_store_dword v2, off, s[36:39], 0 offset:72 ; 4-byte Folded Spill
	s_nop 0
	buffer_store_dword v3, off, s[36:39], 0 offset:76 ; 4-byte Folded Spill
	buffer_store_dword v4, off, s[36:39], 0 offset:80 ; 4-byte Folded Spill
	;; [unrolled: 1-line block ×3, first 2 shown]
	v_fma_f64 v[62:63], v[58:59], v[2:3], -v[0:1]
	ds_write_b128 v246, v[60:63] offset:3328
	s_waitcnt lgkmcnt(0)
	; wave barrier
	s_waitcnt lgkmcnt(0)
	ds_read_b128 v[56:59], v17
	ds_read_b128 v[60:63], v246 offset:512
	ds_read_b128 v[64:67], v246 offset:1024
	;; [unrolled: 1-line block ×13, first 2 shown]
	s_waitcnt lgkmcnt(7)
	v_add_f64 v[0:1], v[60:61], v[80:81]
	v_add_f64 v[2:3], v[62:63], v[82:83]
	;; [unrolled: 1-line block ×4, first 2 shown]
	v_add_f64 v[4:5], v[60:61], -v[80:81]
	v_add_f64 v[6:7], v[62:63], -v[82:83]
	;; [unrolled: 1-line block ×4, first 2 shown]
	v_add_f64 v[60:61], v[68:69], v[72:73]
	v_add_f64 v[62:63], v[70:71], v[74:75]
	v_add_f64 v[64:65], v[72:73], -v[68:69]
	v_add_f64 v[66:67], v[74:75], -v[70:71]
	v_add_f64 v[68:69], v[8:9], v[0:1]
	v_add_f64 v[70:71], v[10:11], v[2:3]
	v_add_f64 v[72:73], v[8:9], -v[0:1]
	v_add_f64 v[74:75], v[10:11], -v[2:3]
	;; [unrolled: 1-line block ×6, first 2 shown]
	v_add_f64 v[76:77], v[64:65], v[12:13]
	v_add_f64 v[78:79], v[66:67], v[14:15]
	v_add_f64 v[80:81], v[64:65], -v[12:13]
	v_add_f64 v[82:83], v[66:67], -v[14:15]
	;; [unrolled: 1-line block ×4, first 2 shown]
	v_add_f64 v[60:61], v[60:61], v[68:69]
	v_add_f64 v[62:63], v[62:63], v[70:71]
	v_add_f64 v[64:65], v[4:5], -v[64:65]
	v_add_f64 v[66:67], v[6:7], -v[66:67]
	v_add_f64 v[4:5], v[76:77], v[4:5]
	v_add_f64 v[6:7], v[78:79], v[6:7]
	v_mul_f64 v[0:1], v[0:1], s[6:7]
	v_mul_f64 v[2:3], v[2:3], s[6:7]
	v_add_f64 v[56:57], v[56:57], v[60:61]
	v_add_f64 v[58:59], v[58:59], v[62:63]
	v_mul_f64 v[68:69], v[8:9], s[4:5]
	v_mul_f64 v[70:71], v[10:11], s[4:5]
	;; [unrolled: 1-line block ×6, first 2 shown]
	v_fma_f64 v[60:61], v[60:61], s[18:19], v[56:57]
	v_fma_f64 v[62:63], v[62:63], s[18:19], v[58:59]
	v_fma_f64 v[8:9], v[8:9], s[4:5], v[0:1]
	v_fma_f64 v[10:11], v[10:11], s[4:5], v[2:3]
	v_fma_f64 v[68:69], v[72:73], s[20:21], -v[68:69]
	v_fma_f64 v[70:71], v[74:75], s[20:21], -v[70:71]
	;; [unrolled: 1-line block ×4, first 2 shown]
	v_fma_f64 v[72:73], v[64:65], s[22:23], v[76:77]
	v_fma_f64 v[74:75], v[66:67], s[22:23], v[78:79]
	v_fma_f64 v[12:13], v[12:13], s[30:31], -v[76:77]
	v_fma_f64 v[14:15], v[14:15], s[30:31], -v[78:79]
	v_fma_f64 v[64:65], v[64:65], s[28:29], v[80:81]
	v_fma_f64 v[66:67], v[66:67], s[28:29], v[82:83]
	v_add_f64 v[8:9], v[8:9], v[60:61]
	v_add_f64 v[10:11], v[10:11], v[62:63]
	;; [unrolled: 1-line block ×6, first 2 shown]
	v_fma_f64 v[82:83], v[4:5], s[26:27], v[72:73]
	v_fma_f64 v[80:81], v[6:7], s[26:27], v[74:75]
	;; [unrolled: 1-line block ×6, first 2 shown]
	s_waitcnt lgkmcnt(0)
	; wave barrier
	s_waitcnt lgkmcnt(0)
	v_add_f64 v[62:63], v[10:11], -v[82:83]
	v_add_f64 v[60:61], v[8:9], v[80:81]
	v_add_f64 v[70:71], v[12:13], v[78:79]
	v_add_f64 v[68:69], v[76:77], -v[14:15]
	v_add_f64 v[66:67], v[2:3], -v[4:5]
	v_add_f64 v[64:65], v[0:1], v[6:7]
	v_add_f64 v[72:73], v[76:77], v[14:15]
	v_add_f64 v[74:75], v[78:79], -v[12:13]
	v_add_f64 v[76:77], v[0:1], -v[6:7]
	v_add_f64 v[78:79], v[4:5], v[2:3]
	v_add_f64 v[80:81], v[8:9], -v[80:81]
	v_add_f64 v[82:83], v[82:83], v[10:11]
	v_add_f64 v[0:1], v[88:89], v[108:109]
	;; [unrolled: 1-line block ×5, first 2 shown]
	v_add_f64 v[4:5], v[88:89], -v[108:109]
	v_add_f64 v[6:7], v[90:91], -v[110:111]
	;; [unrolled: 1-line block ×4, first 2 shown]
	v_add_f64 v[88:89], v[96:97], v[100:101]
	v_add_f64 v[90:91], v[98:99], v[102:103]
	v_add_f64 v[92:93], v[100:101], -v[96:97]
	v_add_f64 v[94:95], v[102:103], -v[98:99]
	v_add_f64 v[96:97], v[8:9], v[0:1]
	v_add_f64 v[98:99], v[10:11], v[2:3]
	v_add_f64 v[100:101], v[8:9], -v[0:1]
	v_add_f64 v[102:103], v[10:11], -v[2:3]
	v_add_f64 v[0:1], v[0:1], -v[88:89]
	v_add_f64 v[2:3], v[2:3], -v[90:91]
	v_add_f64 v[8:9], v[88:89], -v[8:9]
	v_add_f64 v[10:11], v[90:91], -v[10:11]
	v_add_f64 v[104:105], v[92:93], v[12:13]
	v_add_f64 v[106:107], v[94:95], v[14:15]
	v_add_f64 v[108:109], v[92:93], -v[12:13]
	v_add_f64 v[110:111], v[94:95], -v[14:15]
	;; [unrolled: 1-line block ×3, first 2 shown]
	v_add_f64 v[88:89], v[88:89], v[96:97]
	v_add_f64 v[90:91], v[90:91], v[98:99]
	v_add_f64 v[12:13], v[12:13], -v[4:5]
	v_add_f64 v[92:93], v[4:5], -v[92:93]
	v_add_f64 v[94:95], v[6:7], -v[94:95]
	v_add_f64 v[4:5], v[104:105], v[4:5]
	v_add_f64 v[6:7], v[106:107], v[6:7]
	v_mul_f64 v[0:1], v[0:1], s[6:7]
	v_add_f64 v[84:85], v[84:85], v[88:89]
	v_add_f64 v[86:87], v[86:87], v[90:91]
	v_mul_f64 v[2:3], v[2:3], s[6:7]
	v_mul_f64 v[96:97], v[8:9], s[4:5]
	;; [unrolled: 1-line block ×7, first 2 shown]
	v_fma_f64 v[88:89], v[88:89], s[18:19], v[84:85]
	v_fma_f64 v[90:91], v[90:91], s[18:19], v[86:87]
	;; [unrolled: 1-line block ×4, first 2 shown]
	v_fma_f64 v[96:97], v[100:101], s[20:21], -v[96:97]
	v_fma_f64 v[98:99], v[102:103], s[20:21], -v[98:99]
	;; [unrolled: 1-line block ×4, first 2 shown]
	v_fma_f64 v[100:101], v[92:93], s[22:23], v[104:105]
	v_fma_f64 v[102:103], v[94:95], s[22:23], v[106:107]
	v_fma_f64 v[14:15], v[14:15], s[30:31], -v[106:107]
	v_fma_f64 v[94:95], v[94:95], s[28:29], v[110:111]
	v_fma_f64 v[12:13], v[12:13], s[30:31], -v[104:105]
	v_fma_f64 v[92:93], v[92:93], s[28:29], v[108:109]
	v_add_f64 v[8:9], v[8:9], v[88:89]
	v_add_f64 v[10:11], v[10:11], v[90:91]
	;; [unrolled: 1-line block ×4, first 2 shown]
	v_fma_f64 v[110:111], v[4:5], s[26:27], v[100:101]
	v_fma_f64 v[108:109], v[6:7], s[26:27], v[102:103]
	;; [unrolled: 1-line block ×4, first 2 shown]
	v_add_f64 v[2:3], v[2:3], v[90:91]
	v_fma_f64 v[12:13], v[4:5], s[26:27], v[12:13]
	v_fma_f64 v[4:5], v[4:5], s[26:27], v[92:93]
	v_add_f64 v[106:107], v[98:99], v[90:91]
	v_add_f64 v[90:91], v[10:11], -v[110:111]
	v_add_f64 v[88:89], v[8:9], v[108:109]
	v_add_f64 v[96:97], v[104:105], -v[14:15]
	v_add_f64 v[92:93], v[0:1], v[6:7]
	v_add_f64 v[100:101], v[104:105], v[14:15]
	v_add_f64 v[104:105], v[0:1], -v[6:7]
	v_mul_u32_u24_e32 v0, 7, v16
	v_add_f64 v[94:95], v[2:3], -v[4:5]
	v_add_lshl_u32 v251, v170, v0, 4
	v_mul_u32_u24_e32 v0, 7, v144
	v_add_f64 v[98:99], v[12:13], v[106:107]
	v_add_lshl_u32 v24, v170, v0, 4
	v_mul_lo_u16_e32 v0, 37, v16
	v_add_f64 v[102:103], v[106:107], -v[12:13]
	v_lshrrev_b16_e32 v18, 8, v0
	v_add_f64 v[106:107], v[4:5], v[2:3]
	v_mul_lo_u16_e32 v0, 7, v18
	v_add_f64 v[108:109], v[8:9], -v[108:109]
	v_add_f64 v[110:111], v[110:111], v[10:11]
	v_sub_u16_e32 v19, v16, v0
	v_lshlrev_b32_sdwa v0, v132, v19 dst_sel:DWORD dst_unused:UNUSED_PAD src0_sel:DWORD src1_sel:BYTE_0
	ds_write_b128 v251, v[56:59]
	ds_write_b128 v251, v[60:63] offset:16
	ds_write_b128 v251, v[64:67] offset:32
	;; [unrolled: 1-line block ×6, first 2 shown]
	ds_write_b128 v24, v[84:87]
	ds_write_b128 v24, v[88:91] offset:16
	ds_write_b128 v24, v[92:95] offset:32
	;; [unrolled: 1-line block ×6, first 2 shown]
	s_waitcnt lgkmcnt(0)
	; wave barrier
	s_waitcnt lgkmcnt(0)
	ds_read_b128 v[94:97], v17
	ds_read_b128 v[60:63], v246 offset:1792
	ds_read_b128 v[98:101], v246 offset:256
	ds_read_b128 v[64:67], v246 offset:2048
	ds_read_b128 v[102:105], v246 offset:512
	ds_read_b128 v[68:71], v246 offset:2304
	ds_read_b128 v[106:109], v246 offset:768
	ds_read_b128 v[72:75], v246 offset:2560
	ds_read_b128 v[110:113], v246 offset:1024
	ds_read_b128 v[76:79], v246 offset:2816
	ds_read_b128 v[114:117], v246 offset:1280
	ds_read_b128 v[80:83], v246 offset:3072
	ds_read_b128 v[84:87], v246 offset:1536
	ds_read_b128 v[118:121], v246 offset:3328
	global_load_dwordx4 v[56:59], v0, s[10:11]
	v_mul_lo_u16_e32 v88, 37, v144
	v_lshrrev_b16_e32 v20, 8, v88
	v_mul_lo_u16_e32 v4, 7, v20
	v_sub_u16_e32 v21, v144, v4
	v_lshlrev_b32_sdwa v4, v132, v21 dst_sel:DWORD dst_unused:UNUSED_PAD src0_sel:DWORD src1_sel:BYTE_0
	v_or_b32_e32 v92, 32, v16
	v_mul_lo_u16_e32 v93, 37, v92
	v_lshrrev_b16_e32 v22, 8, v93
	v_mul_lo_u16_e32 v8, 7, v22
	v_sub_u16_e32 v23, v92, v8
	v_lshlrev_b32_sdwa v8, v132, v23 dst_sel:DWORD dst_unused:UNUSED_PAD src0_sel:DWORD src1_sel:BYTE_0
	v_mul_lo_u16_e32 v12, 7, v25
	v_sub_u16_e32 v26, v168, v12
	v_lshlrev_b32_sdwa v12, v132, v26 dst_sel:DWORD dst_unused:UNUSED_PAD src0_sel:DWORD src1_sel:BYTE_0
	s_mov_b32 s17, 0x3fe11646
	s_mov_b32 s27, 0xbfdc38aa
	s_waitcnt vmcnt(0) lgkmcnt(12)
	v_mul_f64 v[0:1], v[62:63], v[58:59]
	v_mul_f64 v[2:3], v[60:61], v[58:59]
	v_fma_f64 v[0:1], v[60:61], v[56:57], -v[0:1]
	v_fma_f64 v[2:3], v[62:63], v[56:57], v[2:3]
	global_load_dwordx4 v[60:63], v4, s[10:11]
	s_waitcnt vmcnt(0) lgkmcnt(10)
	v_mul_f64 v[4:5], v[66:67], v[62:63]
	v_mul_f64 v[6:7], v[64:65], v[62:63]
	v_fma_f64 v[4:5], v[64:65], v[60:61], -v[4:5]
	v_fma_f64 v[6:7], v[66:67], v[60:61], v[6:7]
	global_load_dwordx4 v[64:67], v8, s[10:11]
	v_add_f64 v[140:141], v[100:101], -v[6:7]
	v_fma_f64 v[100:101], v[100:101], 2.0, -v[140:141]
	s_waitcnt vmcnt(0) lgkmcnt(8)
	v_mul_f64 v[8:9], v[70:71], v[66:67]
	v_mul_f64 v[10:11], v[68:69], v[66:67]
	v_fma_f64 v[8:9], v[68:69], v[64:65], -v[8:9]
	v_fma_f64 v[10:11], v[70:71], v[64:65], v[10:11]
	global_load_dwordx4 v[68:71], v12, s[10:11]
	v_add_f64 v[146:147], v[102:103], -v[8:9]
	v_add_f64 v[148:149], v[104:105], -v[10:11]
	v_fma_f64 v[102:103], v[102:103], 2.0, -v[146:147]
	v_fma_f64 v[104:105], v[104:105], 2.0, -v[148:149]
	s_waitcnt vmcnt(0) lgkmcnt(6)
	v_mul_f64 v[12:13], v[74:75], v[70:71]
	v_mul_f64 v[14:15], v[72:73], v[70:71]
	v_fma_f64 v[12:13], v[72:73], v[68:69], -v[12:13]
	v_mul_lo_u16_e32 v72, 7, v27
	v_sub_u16_e32 v91, v128, v72
	v_lshlrev_b32_sdwa v72, v132, v91 dst_sel:DWORD dst_unused:UNUSED_PAD src0_sel:DWORD src1_sel:BYTE_0
	v_fma_f64 v[14:15], v[74:75], v[68:69], v[14:15]
	global_load_dwordx4 v[72:75], v72, s[10:11]
	v_add_f64 v[150:151], v[106:107], -v[12:13]
	v_add_f64 v[152:153], v[108:109], -v[14:15]
	v_lshrrev_b16_e32 v15, 9, v88
	v_fma_f64 v[106:107], v[106:107], 2.0, -v[150:151]
	v_fma_f64 v[108:109], v[108:109], 2.0, -v[152:153]
	s_waitcnt vmcnt(0) lgkmcnt(4)
	v_mul_f64 v[89:90], v[78:79], v[74:75]
	v_fma_f64 v[89:90], v[76:77], v[72:73], -v[89:90]
	v_mul_f64 v[76:77], v[76:77], v[74:75]
	v_add_f64 v[154:155], v[110:111], -v[89:90]
	v_fma_f64 v[122:123], v[78:79], v[72:73], v[76:77]
	v_mul_lo_u16_e32 v76, 7, v127
	v_sub_u16_e32 v135, v133, v76
	v_lshlrev_b32_sdwa v76, v132, v135 dst_sel:DWORD dst_unused:UNUSED_PAD src0_sel:DWORD src1_sel:BYTE_0
	global_load_dwordx4 v[76:79], v76, s[10:11]
	v_fma_f64 v[110:111], v[110:111], 2.0, -v[154:155]
	v_add_f64 v[156:157], v[112:113], -v[122:123]
	v_fma_f64 v[112:113], v[112:113], 2.0, -v[156:157]
	s_waitcnt vmcnt(0) lgkmcnt(2)
	v_mul_f64 v[125:126], v[82:83], v[78:79]
	v_fma_f64 v[125:126], v[80:81], v[76:77], -v[125:126]
	v_mul_f64 v[80:81], v[80:81], v[78:79]
	v_add_f64 v[158:159], v[114:115], -v[125:126]
	v_fma_f64 v[130:131], v[82:83], v[76:77], v[80:81]
	v_mul_lo_u16_e32 v80, 7, v166
	v_sub_u16_e32 v167, v136, v80
	v_lshlrev_b32_sdwa v80, v132, v167 dst_sel:DWORD dst_unused:UNUSED_PAD src0_sel:DWORD src1_sel:BYTE_0
	global_load_dwordx4 v[80:83], v80, s[10:11]
	s_waitcnt lgkmcnt(0)
	; wave barrier
	s_waitcnt lgkmcnt(0)
	v_fma_f64 v[114:115], v[114:115], 2.0, -v[158:159]
	v_add_f64 v[160:161], v[116:117], -v[130:131]
	v_fma_f64 v[116:117], v[116:117], 2.0, -v[160:161]
	s_waitcnt vmcnt(0)
	v_mul_f64 v[138:139], v[120:121], v[82:83]
	v_fma_f64 v[142:143], v[118:119], v[80:81], -v[138:139]
	v_mul_f64 v[118:119], v[118:119], v[82:83]
	v_add_f64 v[138:139], v[98:99], -v[4:5]
	v_mul_lo_u16_e32 v5, 14, v15
	v_add_f64 v[162:163], v[84:85], -v[142:143]
	v_fma_f64 v[164:165], v[120:121], v[80:81], v[118:119]
	v_add_f64 v[118:119], v[94:95], -v[0:1]
	v_add_f64 v[120:121], v[96:97], -v[2:3]
	v_fma_f64 v[98:99], v[98:99], 2.0, -v[138:139]
	v_mad_legacy_u16 v0, v18, 14, v19
	v_and_b32_e32 v0, 0xff, v0
	v_add_lshl_u32 v0, v170, v0, 4
	buffer_store_dword v0, off, s[36:39], 0 offset:128 ; 4-byte Folded Spill
	v_add_f64 v[164:165], v[86:87], -v[164:165]
	v_fma_f64 v[94:95], v[94:95], 2.0, -v[118:119]
	v_fma_f64 v[96:97], v[96:97], 2.0, -v[120:121]
	ds_write_b128 v0, v[94:97]
	ds_write_b128 v0, v[118:121] offset:112
	v_mad_legacy_u16 v0, v20, 14, v21
	v_and_b32_e32 v0, 0xff, v0
	v_add_lshl_u32 v0, v170, v0, 4
	buffer_store_dword v0, off, s[36:39], 0 offset:104 ; 4-byte Folded Spill
	ds_write_b128 v0, v[98:101]
	ds_write_b128 v0, v[138:141] offset:112
	v_mad_legacy_u16 v0, v22, 14, v23
	v_and_b32_e32 v0, 0xff, v0
	v_add_lshl_u32 v0, v170, v0, 4
	buffer_store_dword v0, off, s[36:39], 0 offset:108 ; 4-byte Folded Spill
	;; [unrolled: 6-line block ×3, first 2 shown]
	ds_write_b128 v0, v[106:109]
	ds_write_b128 v0, v[150:153] offset:112
	v_mul_lo_u16_e32 v0, 14, v27
	v_fma_f64 v[84:85], v[84:85], 2.0, -v[162:163]
	v_fma_f64 v[86:87], v[86:87], 2.0, -v[164:165]
	v_add_u32_sdwa v0, v0, v91 dst_sel:DWORD dst_unused:UNUSED_PAD src0_sel:DWORD src1_sel:BYTE_0
	v_add_lshl_u32 v0, v170, v0, 4
	buffer_store_dword v0, off, s[36:39], 0 offset:116 ; 4-byte Folded Spill
	ds_write_b128 v0, v[110:113]
	ds_write_b128 v0, v[154:157] offset:112
	v_mul_lo_u16_e32 v0, 14, v127
	v_add_u32_sdwa v0, v0, v135 dst_sel:DWORD dst_unused:UNUSED_PAD src0_sel:DWORD src1_sel:BYTE_0
	v_add_lshl_u32 v0, v170, v0, 4
	buffer_store_dword v0, off, s[36:39], 0 offset:120 ; 4-byte Folded Spill
	ds_write_b128 v0, v[114:117]
	ds_write_b128 v0, v[158:161] offset:112
	v_mul_lo_u16_e32 v0, 14, v166
	v_add_u32_sdwa v0, v0, v167 dst_sel:DWORD dst_unused:UNUSED_PAD src0_sel:DWORD src1_sel:BYTE_0
	v_add_lshl_u32 v0, v170, v0, 4
	buffer_store_dword v0, off, s[36:39], 0 offset:124 ; 4-byte Folded Spill
	ds_write_b128 v0, v[84:87]
	ds_write_b128 v0, v[162:165] offset:112
	v_add_co_u32_e32 v0, vcc, -14, v16
	v_addc_co_u32_e64 v1, s[34:35], 0, -1, vcc
	v_cmp_gt_u32_e32 vcc, 14, v16
	v_cndmask_b32_e64 v1, v1, 0, vcc
	v_cndmask_b32_e32 v0, v0, v16, vcc
	v_lshlrev_b64 v[1:2], 4, v[0:1]
	v_mov_b32_e32 v152, s11
	v_add_co_u32_e32 v1, vcc, s10, v1
	v_addc_co_u32_e32 v2, vcc, v152, v2, vcc
	s_waitcnt lgkmcnt(0)
	; wave barrier
	s_waitcnt lgkmcnt(0)
	ds_read_b128 v[116:119], v17
	ds_read_b128 v[94:97], v246 offset:1792
	ds_read_b128 v[120:123], v246 offset:256
	;; [unrolled: 1-line block ×13, first 2 shown]
	global_load_dwordx4 v[84:87], v[1:2], off offset:112
	v_sub_u16_e32 v18, v144, v5
	v_lshlrev_b32_sdwa v5, v132, v18 dst_sel:DWORD dst_unused:UNUSED_PAD src0_sel:DWORD src1_sel:BYTE_0
	global_load_dwordx4 v[88:91], v5, s[10:11] offset:112
	v_lshrrev_b16_e32 v19, 9, v93
	v_mul_lo_u16_e32 v9, 14, v19
	v_sub_u16_e32 v20, v92, v9
	v_lshlrev_b32_sdwa v9, v132, v20 dst_sel:DWORD dst_unused:UNUSED_PAD src0_sel:DWORD src1_sel:BYTE_0
	v_lshrrev_b16_e32 v21, 9, v124
	v_mul_lo_u16_e32 v13, 14, v21
	v_sub_u16_e32 v22, v168, v13
	v_lshlrev_b32_sdwa v13, v132, v22 dst_sel:DWORD dst_unused:UNUSED_PAD src0_sel:DWORD src1_sel:BYTE_0
	;; [unrolled: 4-line block ×3, first 2 shown]
	v_lshrrev_b16_e32 v127, 11, v137
	v_cmp_lt_u32_e32 vcc, 13, v16
	s_waitcnt vmcnt(1) lgkmcnt(12)
	v_mul_f64 v[1:2], v[96:97], v[86:87]
	v_mul_f64 v[3:4], v[94:95], v[86:87]
	v_fma_f64 v[1:2], v[94:95], v[84:85], -v[1:2]
	global_load_dwordx4 v[92:95], v9, s[10:11] offset:112
	s_waitcnt vmcnt(1) lgkmcnt(10)
	v_mul_f64 v[5:6], v[100:101], v[90:91]
	v_fma_f64 v[3:4], v[96:97], v[84:85], v[3:4]
	v_mul_f64 v[7:8], v[98:99], v[90:91]
	v_fma_f64 v[5:6], v[98:99], v[88:89], -v[5:6]
	global_load_dwordx4 v[96:99], v13, s[10:11] offset:112
	v_fma_f64 v[7:8], v[100:101], v[88:89], v[7:8]
	s_waitcnt vmcnt(1) lgkmcnt(8)
	v_mul_f64 v[9:10], v[104:105], v[94:95]
	v_mul_f64 v[11:12], v[102:103], v[94:95]
	v_fma_f64 v[9:10], v[102:103], v[92:93], -v[9:10]
	v_fma_f64 v[11:12], v[104:105], v[92:93], v[11:12]
	s_waitcnt vmcnt(0) lgkmcnt(6)
	v_mul_f64 v[100:101], v[112:113], v[98:99]
	v_mul_f64 v[13:14], v[114:115], v[98:99]
	v_fma_f64 v[125:126], v[114:115], v[96:97], v[100:101]
	global_load_dwordx4 v[100:103], v26, s[10:11] offset:112
	v_lshrrev_b16_e32 v26, 11, v134
	v_mul_lo_u16_e32 v27, 14, v26
	v_sub_u16_e32 v27, v133, v27
	v_fma_f64 v[13:14], v[112:113], v[96:97], -v[13:14]
	v_add_f64 v[181:182], v[148:149], -v[125:126]
	v_add_f64 v[179:180], v[146:147], -v[13:14]
	v_fma_f64 v[148:149], v[148:149], 2.0, -v[181:182]
	v_fma_f64 v[146:147], v[146:147], 2.0, -v[179:180]
	s_waitcnt vmcnt(0) lgkmcnt(4)
	v_mul_f64 v[104:105], v[159:160], v[102:103]
	v_fma_f64 v[130:131], v[157:158], v[100:101], -v[104:105]
	v_mul_f64 v[104:105], v[157:158], v[102:103]
	v_add_f64 v[183:184], v[153:154], -v[130:131]
	v_fma_f64 v[142:143], v[159:160], v[100:101], v[104:105]
	v_lshlrev_b32_sdwa v104, v132, v27 dst_sel:DWORD dst_unused:UNUSED_PAD src0_sel:DWORD src1_sel:BYTE_0
	global_load_dwordx4 v[104:107], v104, s[10:11] offset:112
	v_add_f64 v[159:160], v[118:119], -v[3:4]
	v_fma_f64 v[153:154], v[153:154], 2.0, -v[183:184]
	v_add_f64 v[185:186], v[155:156], -v[142:143]
	v_fma_f64 v[118:119], v[118:119], 2.0, -v[159:160]
	v_fma_f64 v[155:156], v[155:156], 2.0, -v[185:186]
	s_waitcnt vmcnt(0) lgkmcnt(2)
	v_mul_f64 v[112:113], v[173:174], v[106:107]
	v_fma_f64 v[150:151], v[171:172], v[104:105], -v[112:113]
	v_mul_f64 v[112:113], v[171:172], v[106:107]
	v_add_f64 v[171:172], v[120:121], -v[5:6]
	v_add_f64 v[187:188], v[161:162], -v[150:151]
	v_fma_f64 v[165:166], v[173:174], v[104:105], v[112:113]
	v_mul_lo_u16_e32 v112, 14, v127
	v_sub_u16_e32 v135, v136, v112
	v_lshlrev_b32_sdwa v112, v132, v135 dst_sel:DWORD dst_unused:UNUSED_PAD src0_sel:DWORD src1_sel:BYTE_0
	global_load_dwordx4 v[112:115], v112, s[10:11] offset:112
	v_add_f64 v[173:174], v[122:123], -v[7:8]
	v_fma_f64 v[120:121], v[120:121], 2.0, -v[171:172]
	s_waitcnt lgkmcnt(0)
	v_add_f64 v[189:190], v[163:164], -v[165:166]
	; wave barrier
	v_fma_f64 v[161:162], v[161:162], 2.0, -v[187:188]
	v_fma_f64 v[122:123], v[122:123], 2.0, -v[173:174]
	;; [unrolled: 1-line block ×3, first 2 shown]
	s_waitcnt vmcnt(0)
	v_mul_f64 v[157:158], v[177:178], v[114:115]
	v_fma_f64 v[191:192], v[175:176], v[112:113], -v[157:158]
	v_mul_f64 v[157:158], v[175:176], v[114:115]
	v_add_f64 v[175:176], v[138:139], -v[9:10]
	v_add_f64 v[191:192], v[108:109], -v[191:192]
	v_fma_f64 v[193:194], v[177:178], v[112:113], v[157:158]
	v_add_f64 v[157:158], v[116:117], -v[1:2]
	v_add_f64 v[177:178], v[140:141], -v[11:12]
	v_cndmask_b32_e64 v1, 0, 28, vcc
	v_fma_f64 v[138:139], v[138:139], 2.0, -v[175:176]
	v_add_u32_e32 v0, v0, v1
	v_add_lshl_u32 v0, v170, v0, 4
	buffer_store_dword v0, off, s[36:39], 0 offset:132 ; 4-byte Folded Spill
	v_add_f64 v[193:194], v[110:111], -v[193:194]
	v_fma_f64 v[116:117], v[116:117], 2.0, -v[157:158]
	v_fma_f64 v[140:141], v[140:141], 2.0, -v[177:178]
	ds_write_b128 v0, v[116:119]
	ds_write_b128 v0, v[157:160] offset:224
	v_mad_legacy_u16 v0, v15, 28, v18
	v_and_b32_e32 v0, 0xff, v0
	v_add_lshl_u32 v0, v170, v0, 4
	buffer_store_dword v0, off, s[36:39], 0 offset:136 ; 4-byte Folded Spill
	ds_write_b128 v0, v[120:123]
	ds_write_b128 v0, v[171:174] offset:224
	v_mad_legacy_u16 v0, v19, 28, v20
	v_and_b32_e32 v0, 0xff, v0
	v_add_lshl_u32 v0, v170, v0, 4
	buffer_store_dword v0, off, s[36:39], 0 offset:140 ; 4-byte Folded Spill
	;; [unrolled: 6-line block ×3, first 2 shown]
	ds_write_b128 v0, v[146:149]
	ds_write_b128 v0, v[179:182] offset:224
	v_mul_lo_u16_e32 v0, 28, v23
	v_fma_f64 v[108:109], v[108:109], 2.0, -v[191:192]
	v_fma_f64 v[110:111], v[110:111], 2.0, -v[193:194]
	v_add_u32_sdwa v0, v0, v25 dst_sel:DWORD dst_unused:UNUSED_PAD src0_sel:DWORD src1_sel:BYTE_0
	v_add_lshl_u32 v0, v170, v0, 4
	buffer_store_dword v0, off, s[36:39], 0 offset:148 ; 4-byte Folded Spill
	ds_write_b128 v0, v[153:156]
	ds_write_b128 v0, v[183:186] offset:224
	v_mul_lo_u16_e32 v0, 28, v26
	v_add_u32_sdwa v0, v0, v27 dst_sel:DWORD dst_unused:UNUSED_PAD src0_sel:DWORD src1_sel:BYTE_0
	v_add_lshl_u32 v0, v170, v0, 4
	buffer_store_dword v0, off, s[36:39], 0 offset:152 ; 4-byte Folded Spill
	ds_write_b128 v0, v[161:164]
	ds_write_b128 v0, v[187:190] offset:224
	v_mul_lo_u16_e32 v0, 28, v127
	v_add_u32_sdwa v0, v0, v135 dst_sel:DWORD dst_unused:UNUSED_PAD src0_sel:DWORD src1_sel:BYTE_0
	v_add_lshl_u32 v0, v170, v0, 4
	buffer_store_dword v0, off, s[36:39], 0 offset:156 ; 4-byte Folded Spill
	ds_write_b128 v0, v[108:111]
	ds_write_b128 v0, v[191:194] offset:224
	s_waitcnt lgkmcnt(0)
	; wave barrier
	s_waitcnt lgkmcnt(0)
	ds_read_b128 v[146:149], v17
	ds_read_b128 v[116:119], v246 offset:1792
	ds_read_b128 v[153:156], v246 offset:256
	;; [unrolled: 1-line block ×13, first 2 shown]
	global_load_dwordx4 v[108:111], v196, s[10:11] offset:336
	v_lshrrev_b16_e32 v15, 10, v124
	v_mul_lo_u16_e32 v13, 28, v15
	v_sub_u16_e32 v18, v168, v13
	v_lshlrev_b32_sdwa v13, v132, v18 dst_sel:DWORD dst_unused:UNUSED_PAD src0_sel:DWORD src1_sel:BYTE_0
	global_load_dwordx4 v[124:127], v13, s[10:11] offset:336
	v_add_co_u32_e32 v4, vcc, -12, v16
	v_addc_co_u32_e64 v5, s[34:35], 0, -1, vcc
	v_cmp_gt_u64_e32 vcc, 28, v[144:145]
	v_lshrrev_b16_e32 v19, 12, v129
	v_cndmask_b32_e32 v4, v4, v144, vcc
	v_cndmask_b32_e64 v5, v5, 0, vcc
	v_lshlrev_b64 v[5:6], 4, v[4:5]
	v_mul_lo_u16_e32 v19, 28, v19
	v_add_co_u32_e32 v5, vcc, s10, v5
	v_addc_co_u32_e32 v6, vcc, v152, v6, vcc
	v_sub_u16_e32 v19, v128, v19
	v_and_b32_e32 v19, 0xff, v19
	v_lshlrev_b32_e32 v20, 4, v19
	v_cmp_lt_u64_e32 vcc, 27, v[144:145]
	v_add_lshl_u32 v245, v170, v19, 4
	s_waitcnt vmcnt(1) lgkmcnt(12)
	v_mul_f64 v[0:1], v[118:119], v[110:111]
	v_mul_f64 v[2:3], v[116:117], v[110:111]
	s_waitcnt vmcnt(0) lgkmcnt(6)
	v_mul_f64 v[130:131], v[175:176], v[126:127]
	v_mul_f64 v[13:14], v[177:178], v[126:127]
	v_fma_f64 v[0:1], v[116:117], v[108:109], -v[0:1]
	v_fma_f64 v[2:3], v[118:119], v[108:109], v[2:3]
	global_load_dwordx4 v[116:119], v[5:6], off offset:336
	v_fma_f64 v[150:151], v[177:178], v[124:125], v[130:131]
	global_load_dwordx4 v[128:131], v20, s[10:11] offset:336
	v_lshrrev_b16_e32 v20, 12, v134
	v_mul_lo_u16_e32 v21, 28, v20
	v_sub_u16_e32 v21, v133, v21
	v_lshlrev_b32_sdwa v22, v132, v21 dst_sel:DWORD dst_unused:UNUSED_PAD src0_sel:DWORD src1_sel:BYTE_0
	global_load_dwordx4 v[132:135], v22, s[10:11] offset:336
	v_lshrrev_b16_e32 v22, 12, v137
	v_mul_lo_u16_e32 v22, 28, v22
	v_sub_u16_e32 v22, v136, v22
	v_and_b32_e32 v22, 0xff, v22
	v_lshlrev_b32_e32 v23, 4, v22
	v_fma_f64 v[13:14], v[175:176], v[124:125], -v[13:14]
	v_add_lshl_u32 v25, v170, v22, 4
	s_waitcnt vmcnt(2)
	v_mul_f64 v[5:6], v[122:123], v[118:119]
	v_mul_f64 v[7:8], v[120:121], v[118:119]
	s_waitcnt vmcnt(1) lgkmcnt(4)
	v_mul_f64 v[138:139], v[185:186], v[130:131]
	v_fma_f64 v[5:6], v[120:121], v[116:117], -v[5:6]
	v_fma_f64 v[7:8], v[122:123], v[116:117], v[7:8]
	global_load_dwordx4 v[120:123], v196, s[10:11] offset:400
	v_fma_f64 v[165:166], v[183:184], v[128:129], -v[138:139]
	v_mul_f64 v[138:139], v[183:184], v[130:131]
	v_add_f64 v[175:176], v[153:154], -v[5:6]
	v_add_f64 v[177:178], v[155:156], -v[7:8]
	v_fma_f64 v[201:202], v[185:186], v[128:129], v[138:139]
	s_waitcnt vmcnt(1) lgkmcnt(2)
	v_mul_f64 v[138:139], v[193:194], v[134:135]
	v_fma_f64 v[153:154], v[153:154], 2.0, -v[175:176]
	v_fma_f64 v[155:156], v[155:156], 2.0, -v[177:178]
	v_fma_f64 v[203:204], v[191:192], v[132:133], -v[138:139]
	v_mul_f64 v[138:139], v[191:192], v[134:135]
	v_add_f64 v[191:192], v[171:172], -v[13:14]
	v_fma_f64 v[205:206], v[193:194], v[132:133], v[138:139]
	global_load_dwordx4 v[136:139], v23, s[10:11] offset:336
	v_add_f64 v[193:194], v[173:174], -v[150:151]
	v_fma_f64 v[171:172], v[171:172], 2.0, -v[191:192]
	s_waitcnt lgkmcnt(0)
	; wave barrier
	s_waitcnt lgkmcnt(0)
	v_fma_f64 v[173:174], v[173:174], 2.0, -v[193:194]
	s_waitcnt vmcnt(1)
	v_mul_f64 v[9:10], v[163:164], v[122:123]
	v_mul_f64 v[11:12], v[161:162], v[122:123]
	v_fma_f64 v[9:10], v[161:162], v[120:121], -v[9:10]
	v_fma_f64 v[11:12], v[163:164], v[120:121], v[11:12]
	v_add_f64 v[163:164], v[148:149], -v[2:3]
	v_add_f64 v[183:184], v[157:158], -v[9:10]
	;; [unrolled: 1-line block ×3, first 2 shown]
	v_fma_f64 v[148:149], v[148:149], 2.0, -v[163:164]
	v_fma_f64 v[157:158], v[157:158], 2.0, -v[183:184]
	;; [unrolled: 1-line block ×3, first 2 shown]
	s_waitcnt vmcnt(0)
	v_mul_f64 v[161:162], v[199:200], v[138:139]
	v_fma_f64 v[207:208], v[197:198], v[136:137], -v[161:162]
	v_mul_f64 v[161:162], v[197:198], v[138:139]
	v_add_f64 v[197:198], v[179:180], -v[165:166]
	v_fma_f64 v[209:210], v[199:200], v[136:137], v[161:162]
	v_add_f64 v[161:162], v[146:147], -v[0:1]
	v_add_f64 v[199:200], v[181:182], -v[201:202]
	;; [unrolled: 1-line block ×5, first 2 shown]
	v_cndmask_b32_e64 v0, 0, 56, vcc
	v_fma_f64 v[179:180], v[179:180], 2.0, -v[197:198]
	v_add_f64 v[207:208], v[142:143], -v[209:210]
	v_fma_f64 v[146:147], v[146:147], 2.0, -v[161:162]
	v_fma_f64 v[181:182], v[181:182], 2.0, -v[199:200]
	;; [unrolled: 1-line block ×5, first 2 shown]
	v_add_u32_e32 v0, v0, v4
	v_add_lshl_u32 v0, v170, v0, 4
	v_fma_f64 v[142:143], v[142:143], 2.0, -v[207:208]
	ds_write_b128 v17, v[146:149]
	ds_write_b128 v17, v[161:164] offset:448
	buffer_store_dword v0, off, s[36:39], 0 offset:160 ; 4-byte Folded Spill
	ds_write_b128 v0, v[153:156]
	ds_write_b128 v0, v[175:178] offset:448
	ds_write_b128 v17, v[157:160] offset:960
	;; [unrolled: 1-line block ×3, first 2 shown]
	v_mad_legacy_u16 v0, v15, 56, v18
	v_and_b32_e32 v0, 0xff, v0
	v_add_lshl_u32 v0, v170, v0, 4
	buffer_store_dword v0, off, s[36:39], 0 offset:164 ; 4-byte Folded Spill
	ds_write_b128 v0, v[171:174]
	ds_write_b128 v0, v[191:194] offset:448
	v_mul_lo_u16_e32 v0, 56, v20
	v_add_u32_sdwa v0, v0, v21 dst_sel:DWORD dst_unused:UNUSED_PAD src0_sel:DWORD src1_sel:BYTE_0
	v_add_lshl_u32 v0, v170, v0, 4
	ds_write_b128 v245, v[179:182] offset:1792
	ds_write_b128 v245, v[197:200] offset:2240
	buffer_store_dword v0, off, s[36:39], 0 offset:168 ; 4-byte Folded Spill
	ds_write_b128 v0, v[187:190]
	ds_write_b128 v0, v[201:204] offset:448
	ds_write_b128 v25, v[140:143] offset:2688
	;; [unrolled: 1-line block ×3, first 2 shown]
	s_waitcnt lgkmcnt(0)
	; wave barrier
	s_waitcnt lgkmcnt(0)
	ds_read_b128 v[171:174], v17
	ds_read_b128 v[140:143], v246 offset:1792
	ds_read_b128 v[175:178], v246 offset:256
	ds_read_b128 v[148:151], v246 offset:2048
	ds_read_b128 v[179:182], v246 offset:512
	ds_read_b128 v[153:156], v246 offset:2304
	ds_read_b128 v[183:186], v246 offset:768
	ds_read_b128 v[157:160], v246 offset:2560
	ds_read_b128 v[187:190], v246 offset:1024
	ds_read_b128 v[164:167], v246 offset:2816
	ds_read_b128 v[191:194], v246 offset:1280
	ds_read_b128 v[197:200], v246 offset:3072
	ds_read_b128 v[201:204], v246 offset:1536
	ds_read_b128 v[205:208], v246 offset:3328
	global_load_dwordx4 v[144:147], v196, s[10:11] offset:784
	v_add_co_u32_e32 v12, vcc, -8, v16
	v_addc_co_u32_e64 v13, s[34:35], 0, -1, vcc
	v_cmp_gt_u64_e32 vcc, 56, v[168:169]
	v_cndmask_b32_e32 v12, v12, v168, vcc
	v_cndmask_b32_e64 v13, v13, 0, vcc
	v_lshlrev_b64 v[13:14], 4, v[12:13]
	v_add_co_u32_e32 v13, vcc, s10, v13
	v_addc_co_u32_e32 v14, vcc, v152, v14, vcc
	v_cmp_lt_u64_e32 vcc, 55, v[168:169]
	s_waitcnt vmcnt(0) lgkmcnt(12)
	v_mul_f64 v[0:1], v[142:143], v[146:147]
	v_mul_f64 v[2:3], v[140:141], v[146:147]
	v_fma_f64 v[0:1], v[140:141], v[144:145], -v[0:1]
	v_fma_f64 v[2:3], v[142:143], v[144:145], v[2:3]
	global_load_dwordx4 v[140:143], v196, s[10:11] offset:1040
	s_waitcnt vmcnt(0) lgkmcnt(10)
	v_mul_f64 v[4:5], v[150:151], v[142:143]
	v_mul_f64 v[6:7], v[148:149], v[142:143]
	v_fma_f64 v[4:5], v[148:149], v[140:141], -v[4:5]
	v_fma_f64 v[6:7], v[150:151], v[140:141], v[6:7]
	global_load_dwordx4 v[148:151], v196, s[10:11] offset:1296
	s_waitcnt vmcnt(0) lgkmcnt(8)
	v_mul_f64 v[8:9], v[155:156], v[150:151]
	v_mul_f64 v[10:11], v[153:154], v[150:151]
	v_fma_f64 v[8:9], v[153:154], v[148:149], -v[8:9]
	v_fma_f64 v[10:11], v[155:156], v[148:149], v[10:11]
	global_load_dwordx4 v[152:155], v[13:14], off offset:784
	v_add_f64 v[209:210], v[179:180], -v[8:9]
	v_add_f64 v[211:212], v[181:182], -v[10:11]
	v_fma_f64 v[179:180], v[179:180], 2.0, -v[209:210]
	v_fma_f64 v[181:182], v[181:182], 2.0, -v[211:212]
	s_waitcnt vmcnt(0) lgkmcnt(6)
	v_mul_f64 v[13:14], v[159:160], v[154:155]
	v_fma_f64 v[13:14], v[157:158], v[152:153], -v[13:14]
	v_mul_f64 v[156:157], v[157:158], v[154:155]
	v_add_f64 v[213:214], v[183:184], -v[13:14]
	v_fma_f64 v[215:216], v[159:160], v[152:153], v[156:157]
	global_load_dwordx4 v[160:163], v196, s[10:11] offset:912
	v_fma_f64 v[183:184], v[183:184], 2.0, -v[213:214]
	v_add_f64 v[215:216], v[185:186], -v[215:216]
	v_fma_f64 v[185:186], v[185:186], 2.0, -v[215:216]
	s_waitcnt vmcnt(0) lgkmcnt(4)
	v_mul_f64 v[156:157], v[166:167], v[162:163]
	v_fma_f64 v[217:218], v[164:165], v[160:161], -v[156:157]
	v_mul_f64 v[156:157], v[164:165], v[162:163]
	v_add_f64 v[217:218], v[187:188], -v[217:218]
	v_fma_f64 v[219:220], v[166:167], v[160:161], v[156:157]
	global_load_dwordx4 v[156:159], v196, s[10:11] offset:1168
	v_fma_f64 v[187:188], v[187:188], 2.0, -v[217:218]
	v_add_f64 v[219:220], v[189:190], -v[219:220]
	v_fma_f64 v[189:190], v[189:190], 2.0, -v[219:220]
	s_waitcnt vmcnt(0) lgkmcnt(2)
	v_mul_f64 v[164:165], v[199:200], v[158:159]
	v_fma_f64 v[221:222], v[197:198], v[156:157], -v[164:165]
	v_mul_f64 v[164:165], v[197:198], v[158:159]
	v_add_f64 v[221:222], v[191:192], -v[221:222]
	v_fma_f64 v[223:224], v[199:200], v[156:157], v[164:165]
	global_load_dwordx4 v[164:167], v196, s[10:11] offset:1424
	v_add_f64 v[199:200], v[173:174], -v[2:3]
	s_waitcnt lgkmcnt(0)
	; wave barrier
	s_waitcnt lgkmcnt(0)
	v_fma_f64 v[191:192], v[191:192], 2.0, -v[221:222]
	v_add_f64 v[223:224], v[193:194], -v[223:224]
	v_fma_f64 v[173:174], v[173:174], 2.0, -v[199:200]
	v_fma_f64 v[193:194], v[193:194], 2.0, -v[223:224]
	s_waitcnt vmcnt(0)
	v_mul_f64 v[197:198], v[207:208], v[166:167]
	v_fma_f64 v[225:226], v[205:206], v[164:165], -v[197:198]
	v_mul_f64 v[197:198], v[205:206], v[166:167]
	v_add_f64 v[205:206], v[175:176], -v[4:5]
	v_add_f64 v[225:226], v[201:202], -v[225:226]
	v_fma_f64 v[227:228], v[207:208], v[164:165], v[197:198]
	v_add_f64 v[197:198], v[171:172], -v[0:1]
	v_add_f64 v[207:208], v[177:178], -v[6:7]
	v_fma_f64 v[175:176], v[175:176], 2.0, -v[205:206]
	v_mov_b32_e32 v0, 0x70
	v_cndmask_b32_e32 v0, 0, v0, vcc
	v_add_u32_e32 v0, v0, v12
	v_fma_f64 v[201:202], v[201:202], 2.0, -v[225:226]
	v_add_f64 v[227:228], v[203:204], -v[227:228]
	v_fma_f64 v[171:172], v[171:172], 2.0, -v[197:198]
	v_fma_f64 v[177:178], v[177:178], 2.0, -v[207:208]
	v_add_lshl_u32 v244, v170, v0, 4
	ds_write_b128 v17, v[171:174]
	ds_write_b128 v17, v[197:200] offset:896
	ds_write_b128 v246, v[175:178] offset:256
	;; [unrolled: 1-line block ×5, first 2 shown]
	v_fma_f64 v[203:204], v[203:204], 2.0, -v[227:228]
	ds_write_b128 v244, v[183:186]
	ds_write_b128 v244, v[213:216] offset:896
	ds_write_b128 v17, v[187:190] offset:1920
	;; [unrolled: 1-line block ×7, first 2 shown]
	s_waitcnt lgkmcnt(0)
	; wave barrier
	s_waitcnt lgkmcnt(0)
	ds_read_b128 v[197:200], v17
	ds_read_b128 v[168:171], v246 offset:1792
	ds_read_b128 v[201:204], v246 offset:256
	;; [unrolled: 1-line block ×13, first 2 shown]
	global_load_dwordx4 v[172:175], v196, s[10:11] offset:1680
	s_waitcnt vmcnt(0) lgkmcnt(12)
	v_mul_f64 v[0:1], v[170:171], v[174:175]
	v_mul_f64 v[2:3], v[168:169], v[174:175]
	v_fma_f64 v[233:234], v[168:169], v[172:173], -v[0:1]
	v_fma_f64 v[231:232], v[170:171], v[172:173], v[2:3]
	global_load_dwordx4 v[168:171], v196, s[10:11] offset:1936
	s_waitcnt vmcnt(0) lgkmcnt(10)
	v_mul_f64 v[4:5], v[178:179], v[170:171]
	v_mul_f64 v[6:7], v[176:177], v[170:171]
	v_fma_f64 v[4:5], v[176:177], v[168:169], -v[4:5]
	v_fma_f64 v[235:236], v[178:179], v[168:169], v[6:7]
	;; [unrolled: 6-line block ×4, first 2 shown]
	global_load_dwordx4 v[184:187], v196, s[10:11] offset:2704
	v_add_f64 v[237:238], v[209:210], -v[237:238]
	v_add_f64 v[239:240], v[211:212], -v[239:240]
	v_fma_f64 v[209:210], v[209:210], 2.0, -v[237:238]
	v_fma_f64 v[211:212], v[211:212], 2.0, -v[239:240]
	s_waitcnt vmcnt(0) lgkmcnt(4)
	v_mul_f64 v[229:230], v[190:191], v[186:187]
	v_fma_f64 v[241:242], v[188:189], v[184:185], -v[229:230]
	v_mul_f64 v[188:189], v[188:189], v[186:187]
	v_fma_f64 v[2:3], v[190:191], v[184:185], v[188:189]
	global_load_dwordx4 v[188:191], v196, s[10:11] offset:2960
	s_waitcnt vmcnt(0) lgkmcnt(2)
	v_mul_f64 v[229:230], v[194:195], v[190:191]
	v_fma_f64 v[0:1], v[192:193], v[188:189], -v[229:230]
	v_mul_f64 v[192:193], v[192:193], v[190:191]
	v_fma_f64 v[6:7], v[194:195], v[188:189], v[192:193]
	global_load_dwordx4 v[192:195], v196, s[10:11] offset:3216
	v_add_f64 v[6:7], v[219:220], -v[6:7]
	v_fma_f64 v[219:220], v[219:220], 2.0, -v[6:7]
	s_waitcnt vmcnt(0) lgkmcnt(0)
	v_mul_f64 v[229:230], v[227:228], v[194:195]
	v_fma_f64 v[14:15], v[225:226], v[192:193], -v[229:230]
	v_mul_f64 v[225:226], v[225:226], v[194:195]
	v_add_f64 v[229:230], v[201:202], -v[4:5]
	v_add_f64 v[4:5], v[217:218], -v[0:1]
	;; [unrolled: 1-line block ×3, first 2 shown]
	v_fma_f64 v[12:13], v[227:228], v[192:193], v[225:226]
	v_add_f64 v[225:226], v[197:198], -v[233:234]
	v_add_f64 v[227:228], v[199:200], -v[231:232]
	;; [unrolled: 1-line block ×8, first 2 shown]
	v_fma_f64 v[197:198], v[197:198], 2.0, -v[225:226]
	v_fma_f64 v[199:200], v[199:200], 2.0, -v[227:228]
	;; [unrolled: 1-line block ×11, first 2 shown]
	ds_write_b128 v17, v[197:200]
	ds_write_b128 v246, v[225:228] offset:1792
	ds_write_b128 v246, v[201:204] offset:256
	;; [unrolled: 1-line block ×13, first 2 shown]
	s_waitcnt lgkmcnt(0)
	; wave barrier
	s_waitcnt lgkmcnt(0)
	global_load_dwordx4 v[4:7], v196, s[8:9] offset:3584
	ds_read_b128 v[0:3], v17
	s_waitcnt vmcnt(0) lgkmcnt(0)
	v_mul_f64 v[8:9], v[2:3], v[6:7]
	v_fma_f64 v[8:9], v[0:1], v[4:5], -v[8:9]
	v_mul_f64 v[0:1], v[0:1], v[6:7]
	v_fma_f64 v[10:11], v[2:3], v[4:5], v[0:1]
	global_load_dwordx4 v[4:7], v196, s[2:3] offset:512
	ds_write_b128 v17, v[8:11]
	ds_read_b128 v[0:3], v246 offset:512
	s_waitcnt vmcnt(0) lgkmcnt(0)
	v_mul_f64 v[8:9], v[2:3], v[6:7]
	v_fma_f64 v[8:9], v[0:1], v[4:5], -v[8:9]
	v_mul_f64 v[0:1], v[0:1], v[6:7]
	v_fma_f64 v[10:11], v[2:3], v[4:5], v[0:1]
	global_load_dwordx4 v[4:7], v196, s[2:3] offset:1024
	ds_read_b128 v[0:3], v246 offset:1024
	ds_write_b128 v246, v[8:11] offset:512
	s_waitcnt vmcnt(0) lgkmcnt(1)
	v_mul_f64 v[8:9], v[2:3], v[6:7]
	v_fma_f64 v[8:9], v[0:1], v[4:5], -v[8:9]
	v_mul_f64 v[0:1], v[0:1], v[6:7]
	v_fma_f64 v[10:11], v[2:3], v[4:5], v[0:1]
	global_load_dwordx4 v[4:7], v196, s[2:3] offset:1536
	ds_read_b128 v[0:3], v246 offset:1536
	ds_write_b128 v246, v[8:11] offset:1024
	;; [unrolled: 8-line block ×11, first 2 shown]
	s_waitcnt vmcnt(0) lgkmcnt(1)
	v_mul_f64 v[8:9], v[2:3], v[6:7]
	v_fma_f64 v[8:9], v[0:1], v[4:5], -v[8:9]
	v_mul_f64 v[0:1], v[0:1], v[6:7]
	v_fma_f64 v[10:11], v[2:3], v[4:5], v[0:1]
	global_load_dwordx4 v[4:7], v196, s[2:3] offset:3328
	ds_read_b128 v[0:3], v246 offset:3328
	s_mov_b32 s2, 0x92492492
	s_mov_b32 s3, 0x3f724924
	ds_write_b128 v246, v[8:11] offset:2816
	s_waitcnt vmcnt(0) lgkmcnt(1)
	v_mul_f64 v[8:9], v[2:3], v[6:7]
	v_fma_f64 v[8:9], v[0:1], v[4:5], -v[8:9]
	v_mul_f64 v[0:1], v[0:1], v[6:7]
	v_fma_f64 v[10:11], v[2:3], v[4:5], v[0:1]
	ds_write_b128 v246, v[8:11] offset:3328
	s_waitcnt lgkmcnt(0)
	; wave barrier
	s_waitcnt lgkmcnt(0)
	ds_read_b128 v[247:250], v17
	ds_read_b128 v[4:7], v246 offset:512
	ds_read_b128 v[8:11], v246 offset:1024
	;; [unrolled: 1-line block ×13, first 2 shown]
	s_waitcnt lgkmcnt(7)
	v_add_f64 v[216:217], v[4:5], v[208:209]
	v_add_f64 v[218:219], v[6:7], v[210:211]
	v_add_f64 v[4:5], v[4:5], -v[208:209]
	v_add_f64 v[6:7], v[6:7], -v[210:211]
	v_add_f64 v[208:209], v[8:9], v[204:205]
	v_add_f64 v[210:211], v[10:11], v[206:207]
	v_add_f64 v[8:9], v[8:9], -v[204:205]
	v_add_f64 v[10:11], v[10:11], -v[206:207]
	;; [unrolled: 4-line block ×4, first 2 shown]
	v_add_f64 v[216:217], v[216:217], -v[204:205]
	v_add_f64 v[218:219], v[218:219], -v[206:207]
	;; [unrolled: 1-line block ×4, first 2 shown]
	v_add_f64 v[0:1], v[196:197], v[8:9]
	v_add_f64 v[2:3], v[198:199], v[10:11]
	v_add_f64 v[14:15], v[196:197], -v[8:9]
	v_add_f64 v[22:23], v[198:199], -v[10:11]
	;; [unrolled: 1-line block ×4, first 2 shown]
	v_add_f64 v[200:201], v[204:205], v[200:201]
	v_add_f64 v[202:203], v[206:207], v[202:203]
	v_add_f64 v[12:13], v[4:5], -v[196:197]
	v_add_f64 v[26:27], v[6:7], -v[198:199]
	v_add_f64 v[0:1], v[0:1], v[4:5]
	v_add_f64 v[2:3], v[2:3], v[6:7]
	v_mul_f64 v[4:5], v[216:217], s[6:7]
	v_mul_f64 v[6:7], v[218:219], s[6:7]
	v_add_f64 v[196:197], v[247:248], v[200:201]
	v_add_f64 v[198:199], v[249:250], v[202:203]
	v_mul_f64 v[204:205], v[208:209], s[4:5]
	v_mul_f64 v[206:207], v[210:211], s[4:5]
	;; [unrolled: 1-line block ×6, first 2 shown]
	v_fma_f64 v[200:201], v[200:201], s[18:19], v[196:197]
	v_fma_f64 v[202:203], v[202:203], s[18:19], v[198:199]
	;; [unrolled: 1-line block ×4, first 2 shown]
	v_fma_f64 v[204:205], v[220:221], s[20:21], -v[204:205]
	v_fma_f64 v[206:207], v[222:223], s[20:21], -v[206:207]
	;; [unrolled: 1-line block ×4, first 2 shown]
	v_fma_f64 v[220:221], v[12:13], s[28:29], v[14:15]
	v_fma_f64 v[8:9], v[8:9], s[14:15], -v[14:15]
	v_fma_f64 v[10:11], v[10:11], s[14:15], -v[22:23]
	v_fma_f64 v[12:13], v[12:13], s[22:23], v[216:217]
	v_fma_f64 v[14:15], v[26:27], s[22:23], v[218:219]
	;; [unrolled: 1-line block ×3, first 2 shown]
	v_add_f64 v[204:205], v[204:205], v[200:201]
	v_add_f64 v[206:207], v[206:207], v[202:203]
	;; [unrolled: 1-line block ×4, first 2 shown]
	v_fma_f64 v[8:9], v[0:1], s[26:27], v[8:9]
	v_fma_f64 v[10:11], v[2:3], s[26:27], v[10:11]
	;; [unrolled: 1-line block ×4, first 2 shown]
	v_add_f64 v[22:23], v[208:209], v[200:201]
	v_add_f64 v[26:27], v[210:211], v[202:203]
	v_fma_f64 v[202:203], v[0:1], s[26:27], v[220:221]
	v_fma_f64 v[200:201], v[2:3], s[26:27], v[222:223]
	v_add_f64 v[2:3], v[8:9], v[206:207]
	v_add_f64 v[0:1], v[204:205], -v[10:11]
	v_add_f64 v[218:219], v[6:7], -v[12:13]
	v_add_f64 v[216:217], v[4:5], v[14:15]
	v_add_f64 v[208:209], v[204:205], v[10:11]
	v_add_f64 v[210:211], v[206:207], -v[8:9]
	v_add_f64 v[204:205], v[4:5], -v[14:15]
	v_add_f64 v[206:207], v[12:13], v[6:7]
	s_waitcnt lgkmcnt(0)
	v_add_f64 v[4:5], v[228:229], v[212:213]
	v_add_f64 v[6:7], v[230:231], v[214:215]
	;; [unrolled: 1-line block ×5, first 2 shown]
	v_add_f64 v[222:223], v[26:27], -v[202:203]
	v_add_f64 v[200:201], v[22:23], -v[200:201]
	v_add_f64 v[202:203], v[202:203], v[26:27]
	v_add_f64 v[8:9], v[228:229], -v[212:213]
	v_add_f64 v[10:11], v[230:231], -v[214:215]
	;; [unrolled: 1-line block ×4, first 2 shown]
	v_add_f64 v[22:23], v[236:237], v[240:241]
	v_add_f64 v[26:27], v[238:239], v[242:243]
	v_add_f64 v[212:213], v[240:241], -v[236:237]
	v_add_f64 v[214:215], v[242:243], -v[238:239]
	v_add_f64 v[228:229], v[12:13], v[4:5]
	v_add_f64 v[230:231], v[14:15], v[6:7]
	v_add_f64 v[232:233], v[12:13], -v[4:5]
	v_add_f64 v[234:235], v[14:15], -v[6:7]
	v_add_f64 v[4:5], v[4:5], -v[22:23]
	v_add_f64 v[6:7], v[6:7], -v[26:27]
	v_add_f64 v[12:13], v[22:23], -v[12:13]
	v_add_f64 v[14:15], v[26:27], -v[14:15]
	v_add_f64 v[236:237], v[212:213], v[18:19]
	v_add_f64 v[238:239], v[214:215], v[20:21]
	v_add_f64 v[240:241], v[212:213], -v[18:19]
	v_add_f64 v[242:243], v[214:215], -v[20:21]
	;; [unrolled: 1-line block ×4, first 2 shown]
	v_add_f64 v[22:23], v[22:23], v[228:229]
	v_add_f64 v[26:27], v[26:27], v[230:231]
	v_add_f64 v[212:213], v[8:9], -v[212:213]
	v_add_f64 v[214:215], v[10:11], -v[214:215]
	v_add_f64 v[8:9], v[236:237], v[8:9]
	v_add_f64 v[10:11], v[238:239], v[10:11]
	v_mul_f64 v[4:5], v[4:5], s[6:7]
	v_mul_f64 v[6:7], v[6:7], s[6:7]
	v_add_f64 v[224:225], v[224:225], v[22:23]
	v_add_f64 v[226:227], v[226:227], v[26:27]
	v_mul_f64 v[228:229], v[12:13], s[4:5]
	v_mul_f64 v[230:231], v[14:15], s[4:5]
	;; [unrolled: 1-line block ×6, first 2 shown]
	v_fma_f64 v[22:23], v[22:23], s[18:19], v[224:225]
	v_fma_f64 v[26:27], v[26:27], s[18:19], v[226:227]
	;; [unrolled: 1-line block ×4, first 2 shown]
	v_fma_f64 v[228:229], v[232:233], s[20:21], -v[228:229]
	v_fma_f64 v[230:231], v[234:235], s[20:21], -v[230:231]
	;; [unrolled: 1-line block ×4, first 2 shown]
	v_fma_f64 v[232:233], v[212:213], s[28:29], v[236:237]
	v_fma_f64 v[234:235], v[214:215], s[28:29], v[238:239]
	v_fma_f64 v[18:19], v[18:19], s[14:15], -v[236:237]
	v_fma_f64 v[20:21], v[20:21], s[14:15], -v[238:239]
	v_fma_f64 v[212:213], v[212:213], s[22:23], v[240:241]
	v_fma_f64 v[214:215], v[214:215], s[22:23], v[242:243]
	v_add_f64 v[12:13], v[12:13], v[22:23]
	v_add_f64 v[14:15], v[14:15], v[26:27]
	;; [unrolled: 1-line block ×6, first 2 shown]
	v_fma_f64 v[247:248], v[8:9], s[26:27], v[232:233]
	v_fma_f64 v[249:250], v[10:11], s[26:27], v[234:235]
	v_fma_f64 v[18:19], v[8:9], s[26:27], v[18:19]
	v_fma_f64 v[20:21], v[10:11], s[26:27], v[20:21]
	v_fma_f64 v[212:213], v[8:9], s[26:27], v[212:213]
	v_fma_f64 v[214:215], v[10:11], s[26:27], v[214:215]
	s_waitcnt lgkmcnt(0)
	; wave barrier
	v_add_f64 v[6:7], v[14:15], -v[247:248]
	v_add_f64 v[4:5], v[12:13], v[249:250]
	v_add_f64 v[242:243], v[18:19], v[230:231]
	v_add_f64 v[240:241], v[228:229], -v[20:21]
	v_add_f64 v[10:11], v[26:27], -v[212:213]
	v_add_f64 v[8:9], v[22:23], v[214:215]
	v_add_f64 v[236:237], v[228:229], v[20:21]
	v_add_f64 v[238:239], v[230:231], -v[18:19]
	v_add_f64 v[232:233], v[22:23], -v[214:215]
	v_add_f64 v[234:235], v[212:213], v[26:27]
	v_add_f64 v[228:229], v[12:13], -v[249:250]
	v_add_f64 v[230:231], v[247:248], v[14:15]
	ds_write_b128 v251, v[196:199]
	ds_write_b128 v251, v[220:223] offset:16
	ds_write_b128 v251, v[216:219] offset:32
	;; [unrolled: 1-line block ×6, first 2 shown]
	ds_write_b128 v24, v[224:227]
	ds_write_b128 v24, v[4:7] offset:16
	ds_write_b128 v24, v[8:11] offset:32
	;; [unrolled: 1-line block ×6, first 2 shown]
	s_waitcnt lgkmcnt(0)
	; wave barrier
	s_waitcnt lgkmcnt(0)
	ds_read_b128 v[0:3], v17
	ds_read_b128 v[4:7], v246 offset:1792
	ds_read_b128 v[8:11], v246 offset:256
	;; [unrolled: 1-line block ×13, first 2 shown]
	s_waitcnt lgkmcnt(12)
	v_mul_f64 v[18:19], v[58:59], v[6:7]
	s_waitcnt lgkmcnt(0)
	; wave barrier
	s_waitcnt lgkmcnt(0)
	v_fma_f64 v[18:19], v[56:57], v[4:5], v[18:19]
	v_mul_f64 v[4:5], v[58:59], v[4:5]
	v_fma_f64 v[6:7], v[56:57], v[6:7], -v[4:5]
	v_mul_f64 v[4:5], v[62:63], v[14:15]
	v_add_f64 v[6:7], v[2:3], -v[6:7]
	v_fma_f64 v[20:21], v[60:61], v[12:13], v[4:5]
	v_mul_f64 v[4:5], v[62:63], v[12:13]
	v_fma_f64 v[2:3], v[2:3], 2.0, -v[6:7]
	v_add_f64 v[12:13], v[8:9], -v[20:21]
	v_fma_f64 v[14:15], v[60:61], v[14:15], -v[4:5]
	v_mul_f64 v[4:5], v[66:67], v[202:203]
	v_fma_f64 v[8:9], v[8:9], 2.0, -v[12:13]
	v_add_f64 v[14:15], v[10:11], -v[14:15]
	v_fma_f64 v[22:23], v[64:65], v[200:201], v[4:5]
	v_mul_f64 v[4:5], v[66:67], v[200:201]
	v_fma_f64 v[10:11], v[10:11], 2.0, -v[14:15]
	v_add_f64 v[56:57], v[196:197], -v[22:23]
	v_fma_f64 v[26:27], v[64:65], v[202:203], -v[4:5]
	v_mul_f64 v[4:5], v[70:71], v[210:211]
	v_fma_f64 v[60:61], v[196:197], 2.0, -v[56:57]
	;; [unrolled: 8-line block ×3, first 2 shown]
	v_add_f64 v[66:67], v[206:207], -v[66:67]
	v_fma_f64 v[200:201], v[72:73], v[216:217], v[4:5]
	v_mul_f64 v[4:5], v[74:75], v[216:217]
	v_fma_f64 v[70:71], v[206:207], 2.0, -v[66:67]
	v_fma_f64 v[74:75], v[72:73], v[218:219], -v[4:5]
	v_mul_f64 v[4:5], v[78:79], v[226:227]
	v_add_f64 v[72:73], v[212:213], -v[200:201]
	v_add_f64 v[74:75], v[214:215], -v[74:75]
	v_fma_f64 v[202:203], v[76:77], v[224:225], v[4:5]
	v_mul_f64 v[4:5], v[78:79], v[224:225]
	v_fma_f64 v[78:79], v[214:215], 2.0, -v[74:75]
	v_fma_f64 v[208:209], v[76:77], v[226:227], -v[4:5]
	v_mul_f64 v[4:5], v[82:83], v[234:235]
	v_fma_f64 v[76:77], v[212:213], 2.0, -v[72:73]
	v_fma_f64 v[210:211], v[80:81], v[232:233], v[4:5]
	v_mul_f64 v[4:5], v[82:83], v[232:233]
	v_add_f64 v[82:83], v[222:223], -v[208:209]
	v_add_f64 v[200:201], v[228:229], -v[210:211]
	v_fma_f64 v[216:217], v[80:81], v[234:235], -v[4:5]
	v_add_f64 v[4:5], v[0:1], -v[18:19]
	buffer_load_dword v18, off, s[36:39], 0 offset:128 ; 4-byte Folded Reload
	v_add_f64 v[80:81], v[220:221], -v[202:203]
	v_fma_f64 v[198:199], v[222:223], 2.0, -v[82:83]
	v_fma_f64 v[204:205], v[228:229], 2.0, -v[200:201]
	v_add_f64 v[202:203], v[230:231], -v[216:217]
	v_fma_f64 v[0:1], v[0:1], 2.0, -v[4:5]
	s_waitcnt vmcnt(0)
	ds_write_b128 v18, v[0:3]
	ds_write_b128 v18, v[4:7] offset:112
	buffer_load_dword v0, off, s[36:39], 0 offset:104 ; 4-byte Folded Reload
	s_waitcnt vmcnt(0)
	ds_write_b128 v0, v[8:11]
	ds_write_b128 v0, v[12:15] offset:112
	buffer_load_dword v0, off, s[36:39], 0 offset:108 ; 4-byte Folded Reload
	;; [unrolled: 4-line block ×5, first 2 shown]
	v_fma_f64 v[196:197], v[220:221], 2.0, -v[80:81]
	s_waitcnt vmcnt(0)
	ds_write_b128 v0, v[196:199]
	ds_write_b128 v0, v[80:83] offset:112
	buffer_load_dword v0, off, s[36:39], 0 offset:124 ; 4-byte Folded Reload
	v_fma_f64 v[206:207], v[230:231], 2.0, -v[202:203]
	s_waitcnt vmcnt(0)
	ds_write_b128 v0, v[204:207]
	ds_write_b128 v0, v[200:203] offset:112
	s_waitcnt lgkmcnt(0)
	; wave barrier
	s_waitcnt lgkmcnt(0)
	ds_read_b128 v[0:3], v17
	ds_read_b128 v[4:7], v246 offset:1792
	ds_read_b128 v[8:11], v246 offset:256
	;; [unrolled: 1-line block ×13, first 2 shown]
	s_waitcnt lgkmcnt(12)
	v_mul_f64 v[18:19], v[86:87], v[6:7]
	s_waitcnt lgkmcnt(0)
	; wave barrier
	s_waitcnt lgkmcnt(0)
	v_fma_f64 v[18:19], v[84:85], v[4:5], v[18:19]
	v_mul_f64 v[4:5], v[86:87], v[4:5]
	v_fma_f64 v[6:7], v[84:85], v[6:7], -v[4:5]
	v_mul_f64 v[4:5], v[90:91], v[14:15]
	v_add_f64 v[6:7], v[2:3], -v[6:7]
	v_fma_f64 v[20:21], v[88:89], v[12:13], v[4:5]
	v_mul_f64 v[4:5], v[90:91], v[12:13]
	v_fma_f64 v[2:3], v[2:3], 2.0, -v[6:7]
	v_add_f64 v[12:13], v[8:9], -v[20:21]
	v_fma_f64 v[14:15], v[88:89], v[14:15], -v[4:5]
	v_mul_f64 v[4:5], v[94:95], v[62:63]
	v_fma_f64 v[8:9], v[8:9], 2.0, -v[12:13]
	v_add_f64 v[14:15], v[10:11], -v[14:15]
	v_fma_f64 v[22:23], v[92:93], v[60:61], v[4:5]
	v_mul_f64 v[4:5], v[94:95], v[60:61]
	v_fma_f64 v[10:11], v[10:11], 2.0, -v[14:15]
	v_add_f64 v[60:61], v[56:57], -v[22:23]
	v_fma_f64 v[26:27], v[92:93], v[62:63], -v[4:5]
	v_mul_f64 v[4:5], v[98:99], v[70:71]
	v_fma_f64 v[56:57], v[56:57], 2.0, -v[60:61]
	;; [unrolled: 8-line block ×5, first 2 shown]
	v_add_f64 v[86:87], v[82:83], -v[90:91]
	v_fma_f64 v[92:93], v[112:113], v[204:205], v[4:5]
	v_mul_f64 v[4:5], v[114:115], v[204:205]
	v_fma_f64 v[82:83], v[82:83], 2.0, -v[86:87]
	v_add_f64 v[88:89], v[200:201], -v[92:93]
	v_fma_f64 v[94:95], v[112:113], v[206:207], -v[4:5]
	v_add_f64 v[4:5], v[0:1], -v[18:19]
	buffer_load_dword v18, off, s[36:39], 0 offset:132 ; 4-byte Folded Reload
	v_fma_f64 v[92:93], v[200:201], 2.0, -v[88:89]
	v_add_f64 v[90:91], v[202:203], -v[94:95]
	v_fma_f64 v[0:1], v[0:1], 2.0, -v[4:5]
	s_waitcnt vmcnt(0)
	ds_write_b128 v18, v[0:3]
	ds_write_b128 v18, v[4:7] offset:224
	buffer_load_dword v0, off, s[36:39], 0 offset:136 ; 4-byte Folded Reload
	s_waitcnt vmcnt(0)
	ds_write_b128 v0, v[8:11]
	ds_write_b128 v0, v[12:15] offset:224
	buffer_load_dword v0, off, s[36:39], 0 offset:140 ; 4-byte Folded Reload
	;; [unrolled: 4-line block ×6, first 2 shown]
	v_fma_f64 v[94:95], v[202:203], 2.0, -v[90:91]
	s_waitcnt vmcnt(0)
	ds_write_b128 v0, v[92:95]
	ds_write_b128 v0, v[88:91] offset:224
	s_waitcnt lgkmcnt(0)
	; wave barrier
	s_waitcnt lgkmcnt(0)
	ds_read_b128 v[0:3], v17
	ds_read_b128 v[4:7], v246 offset:1792
	ds_read_b128 v[8:11], v246 offset:256
	;; [unrolled: 1-line block ×13, first 2 shown]
	s_waitcnt lgkmcnt(12)
	v_mul_f64 v[18:19], v[110:111], v[6:7]
	s_waitcnt lgkmcnt(0)
	; wave barrier
	s_waitcnt lgkmcnt(0)
	v_fma_f64 v[18:19], v[108:109], v[4:5], v[18:19]
	v_mul_f64 v[4:5], v[110:111], v[4:5]
	v_fma_f64 v[6:7], v[108:109], v[6:7], -v[4:5]
	v_mul_f64 v[4:5], v[118:119], v[14:15]
	v_add_f64 v[6:7], v[2:3], -v[6:7]
	v_fma_f64 v[20:21], v[116:117], v[12:13], v[4:5]
	v_mul_f64 v[4:5], v[118:119], v[12:13]
	v_fma_f64 v[2:3], v[2:3], 2.0, -v[6:7]
	v_add_f64 v[12:13], v[8:9], -v[20:21]
	v_fma_f64 v[14:15], v[116:117], v[14:15], -v[4:5]
	v_mul_f64 v[4:5], v[122:123], v[62:63]
	v_fma_f64 v[8:9], v[8:9], 2.0, -v[12:13]
	v_add_f64 v[14:15], v[10:11], -v[14:15]
	v_fma_f64 v[22:23], v[120:121], v[60:61], v[4:5]
	v_mul_f64 v[4:5], v[122:123], v[60:61]
	v_fma_f64 v[10:11], v[10:11], 2.0, -v[14:15]
	v_add_f64 v[60:61], v[56:57], -v[22:23]
	v_fma_f64 v[26:27], v[120:121], v[62:63], -v[4:5]
	v_mul_f64 v[4:5], v[126:127], v[70:71]
	v_fma_f64 v[56:57], v[56:57], 2.0, -v[60:61]
	v_add_f64 v[62:63], v[58:59], -v[26:27]
	v_fma_f64 v[96:97], v[124:125], v[68:69], v[4:5]
	v_mul_f64 v[4:5], v[126:127], v[68:69]
	v_fma_f64 v[58:59], v[58:59], 2.0, -v[62:63]
	v_add_f64 v[68:69], v[64:65], -v[96:97]
	v_fma_f64 v[70:71], v[124:125], v[70:71], -v[4:5]
	v_mul_f64 v[4:5], v[130:131], v[78:79]
	v_fma_f64 v[64:65], v[64:65], 2.0, -v[68:69]
	v_add_f64 v[70:71], v[66:67], -v[70:71]
	v_fma_f64 v[98:99], v[128:129], v[76:77], v[4:5]
	v_mul_f64 v[4:5], v[130:131], v[76:77]
	v_fma_f64 v[66:67], v[66:67], 2.0, -v[70:71]
	v_add_f64 v[76:77], v[72:73], -v[98:99]
	v_fma_f64 v[78:79], v[128:129], v[78:79], -v[4:5]
	v_mul_f64 v[4:5], v[134:135], v[86:87]
	v_fma_f64 v[72:73], v[72:73], 2.0, -v[76:77]
	v_add_f64 v[78:79], v[74:75], -v[78:79]
	v_fma_f64 v[100:101], v[132:133], v[84:85], v[4:5]
	v_mul_f64 v[4:5], v[134:135], v[84:85]
	v_fma_f64 v[74:75], v[74:75], 2.0, -v[78:79]
	v_add_f64 v[84:85], v[80:81], -v[100:101]
	v_fma_f64 v[86:87], v[132:133], v[86:87], -v[4:5]
	v_mul_f64 v[4:5], v[138:139], v[94:95]
	v_fma_f64 v[80:81], v[80:81], 2.0, -v[84:85]
	v_add_f64 v[86:87], v[82:83], -v[86:87]
	v_fma_f64 v[102:103], v[136:137], v[92:93], v[4:5]
	v_mul_f64 v[4:5], v[138:139], v[92:93]
	v_fma_f64 v[82:83], v[82:83], 2.0, -v[86:87]
	v_add_f64 v[92:93], v[88:89], -v[102:103]
	v_fma_f64 v[94:95], v[136:137], v[94:95], -v[4:5]
	v_add_f64 v[4:5], v[0:1], -v[18:19]
	v_fma_f64 v[88:89], v[88:89], 2.0, -v[92:93]
	v_add_f64 v[94:95], v[90:91], -v[94:95]
	v_fma_f64 v[0:1], v[0:1], 2.0, -v[4:5]
	ds_write_b128 v17, v[0:3]
	ds_write_b128 v17, v[4:7] offset:448
	buffer_load_dword v0, off, s[36:39], 0 offset:160 ; 4-byte Folded Reload
	s_waitcnt vmcnt(0)
	ds_write_b128 v0, v[8:11]
	ds_write_b128 v0, v[12:15] offset:448
	ds_write_b128 v17, v[56:59] offset:960
	;; [unrolled: 1-line block ×3, first 2 shown]
	buffer_load_dword v0, off, s[36:39], 0 offset:164 ; 4-byte Folded Reload
	s_waitcnt vmcnt(0)
	ds_write_b128 v0, v[64:67]
	ds_write_b128 v0, v[68:71] offset:448
	ds_write_b128 v245, v[72:75] offset:1792
	;; [unrolled: 1-line block ×3, first 2 shown]
	buffer_load_dword v0, off, s[36:39], 0 offset:168 ; 4-byte Folded Reload
	v_fma_f64 v[90:91], v[90:91], 2.0, -v[94:95]
	s_waitcnt vmcnt(0)
	ds_write_b128 v0, v[80:83]
	ds_write_b128 v0, v[84:87] offset:448
	ds_write_b128 v25, v[88:91] offset:2688
	;; [unrolled: 1-line block ×3, first 2 shown]
	s_waitcnt lgkmcnt(0)
	; wave barrier
	s_waitcnt lgkmcnt(0)
	ds_read_b128 v[0:3], v17
	ds_read_b128 v[4:7], v246 offset:1792
	ds_read_b128 v[8:11], v246 offset:256
	;; [unrolled: 1-line block ×13, first 2 shown]
	s_waitcnt lgkmcnt(12)
	v_mul_f64 v[18:19], v[146:147], v[6:7]
	s_waitcnt lgkmcnt(0)
	; wave barrier
	s_waitcnt lgkmcnt(0)
	v_fma_f64 v[18:19], v[144:145], v[4:5], v[18:19]
	v_mul_f64 v[4:5], v[146:147], v[4:5]
	v_fma_f64 v[6:7], v[144:145], v[6:7], -v[4:5]
	v_mul_f64 v[4:5], v[142:143], v[14:15]
	v_add_f64 v[6:7], v[2:3], -v[6:7]
	v_fma_f64 v[20:21], v[140:141], v[12:13], v[4:5]
	v_mul_f64 v[4:5], v[142:143], v[12:13]
	v_fma_f64 v[2:3], v[2:3], 2.0, -v[6:7]
	v_add_f64 v[12:13], v[8:9], -v[20:21]
	v_fma_f64 v[14:15], v[140:141], v[14:15], -v[4:5]
	v_mul_f64 v[4:5], v[150:151], v[62:63]
	v_fma_f64 v[8:9], v[8:9], 2.0, -v[12:13]
	v_add_f64 v[14:15], v[10:11], -v[14:15]
	v_fma_f64 v[22:23], v[148:149], v[60:61], v[4:5]
	v_mul_f64 v[4:5], v[150:151], v[60:61]
	v_fma_f64 v[10:11], v[10:11], 2.0, -v[14:15]
	v_add_f64 v[60:61], v[56:57], -v[22:23]
	v_fma_f64 v[24:25], v[148:149], v[62:63], -v[4:5]
	v_mul_f64 v[4:5], v[154:155], v[70:71]
	v_fma_f64 v[56:57], v[56:57], 2.0, -v[60:61]
	v_add_f64 v[62:63], v[58:59], -v[24:25]
	v_fma_f64 v[26:27], v[152:153], v[68:69], v[4:5]
	v_mul_f64 v[4:5], v[154:155], v[68:69]
	v_fma_f64 v[58:59], v[58:59], 2.0, -v[62:63]
	v_add_f64 v[68:69], v[64:65], -v[26:27]
	v_fma_f64 v[70:71], v[152:153], v[70:71], -v[4:5]
	v_mul_f64 v[4:5], v[162:163], v[78:79]
	v_fma_f64 v[64:65], v[64:65], 2.0, -v[68:69]
	v_add_f64 v[70:71], v[66:67], -v[70:71]
	v_fma_f64 v[96:97], v[160:161], v[76:77], v[4:5]
	v_mul_f64 v[4:5], v[162:163], v[76:77]
	v_fma_f64 v[66:67], v[66:67], 2.0, -v[70:71]
	v_add_f64 v[76:77], v[72:73], -v[96:97]
	v_fma_f64 v[78:79], v[160:161], v[78:79], -v[4:5]
	v_mul_f64 v[4:5], v[158:159], v[86:87]
	v_fma_f64 v[72:73], v[72:73], 2.0, -v[76:77]
	v_add_f64 v[78:79], v[74:75], -v[78:79]
	v_fma_f64 v[98:99], v[156:157], v[84:85], v[4:5]
	v_mul_f64 v[4:5], v[158:159], v[84:85]
	v_fma_f64 v[74:75], v[74:75], 2.0, -v[78:79]
	v_add_f64 v[84:85], v[80:81], -v[98:99]
	v_fma_f64 v[86:87], v[156:157], v[86:87], -v[4:5]
	v_mul_f64 v[4:5], v[166:167], v[94:95]
	v_fma_f64 v[80:81], v[80:81], 2.0, -v[84:85]
	v_add_f64 v[86:87], v[82:83], -v[86:87]
	v_fma_f64 v[100:101], v[164:165], v[92:93], v[4:5]
	v_mul_f64 v[4:5], v[166:167], v[92:93]
	v_fma_f64 v[82:83], v[82:83], 2.0, -v[86:87]
	v_add_f64 v[92:93], v[88:89], -v[100:101]
	v_fma_f64 v[94:95], v[164:165], v[94:95], -v[4:5]
	v_add_f64 v[4:5], v[0:1], -v[18:19]
	v_fma_f64 v[88:89], v[88:89], 2.0, -v[92:93]
	v_add_f64 v[94:95], v[90:91], -v[94:95]
	v_fma_f64 v[0:1], v[0:1], 2.0, -v[4:5]
	v_fma_f64 v[90:91], v[90:91], 2.0, -v[94:95]
	ds_write_b128 v17, v[0:3]
	ds_write_b128 v17, v[4:7] offset:896
	ds_write_b128 v246, v[8:11] offset:256
	;; [unrolled: 1-line block ×5, first 2 shown]
	ds_write_b128 v244, v[64:67]
	ds_write_b128 v244, v[68:71] offset:896
	ds_write_b128 v17, v[72:75] offset:1920
	;; [unrolled: 1-line block ×7, first 2 shown]
	s_waitcnt lgkmcnt(0)
	; wave barrier
	s_waitcnt lgkmcnt(0)
	ds_read_b128 v[0:3], v17
	ds_read_b128 v[4:7], v246 offset:1792
	ds_read_b128 v[8:11], v246 offset:256
	;; [unrolled: 1-line block ×13, first 2 shown]
	s_waitcnt lgkmcnt(12)
	v_mul_f64 v[18:19], v[174:175], v[6:7]
	v_fma_f64 v[18:19], v[172:173], v[4:5], v[18:19]
	v_mul_f64 v[4:5], v[174:175], v[4:5]
	v_fma_f64 v[6:7], v[172:173], v[6:7], -v[4:5]
	s_waitcnt lgkmcnt(10)
	v_mul_f64 v[4:5], v[170:171], v[14:15]
	v_add_f64 v[6:7], v[2:3], -v[6:7]
	v_fma_f64 v[20:21], v[168:169], v[12:13], v[4:5]
	v_mul_f64 v[4:5], v[170:171], v[12:13]
	v_fma_f64 v[2:3], v[2:3], 2.0, -v[6:7]
	v_add_f64 v[12:13], v[8:9], -v[20:21]
	v_fma_f64 v[14:15], v[168:169], v[14:15], -v[4:5]
	s_waitcnt lgkmcnt(8)
	v_mul_f64 v[4:5], v[178:179], v[62:63]
	v_fma_f64 v[8:9], v[8:9], 2.0, -v[12:13]
	v_add_f64 v[14:15], v[10:11], -v[14:15]
	v_fma_f64 v[22:23], v[176:177], v[60:61], v[4:5]
	v_mul_f64 v[4:5], v[178:179], v[60:61]
	v_fma_f64 v[10:11], v[10:11], 2.0, -v[14:15]
	v_add_f64 v[60:61], v[56:57], -v[22:23]
	v_fma_f64 v[24:25], v[176:177], v[62:63], -v[4:5]
	s_waitcnt lgkmcnt(6)
	v_mul_f64 v[4:5], v[182:183], v[70:71]
	v_fma_f64 v[56:57], v[56:57], 2.0, -v[60:61]
	v_add_f64 v[62:63], v[58:59], -v[24:25]
	v_fma_f64 v[26:27], v[180:181], v[68:69], v[4:5]
	v_mul_f64 v[4:5], v[182:183], v[68:69]
	v_fma_f64 v[58:59], v[58:59], 2.0, -v[62:63]
	v_add_f64 v[68:69], v[64:65], -v[26:27]
	v_fma_f64 v[70:71], v[180:181], v[70:71], -v[4:5]
	s_waitcnt lgkmcnt(4)
	v_mul_f64 v[4:5], v[186:187], v[78:79]
	v_fma_f64 v[64:65], v[64:65], 2.0, -v[68:69]
	v_add_f64 v[70:71], v[66:67], -v[70:71]
	v_fma_f64 v[96:97], v[184:185], v[76:77], v[4:5]
	v_mul_f64 v[4:5], v[186:187], v[76:77]
	v_fma_f64 v[66:67], v[66:67], 2.0, -v[70:71]
	v_add_f64 v[76:77], v[72:73], -v[96:97]
	v_fma_f64 v[78:79], v[184:185], v[78:79], -v[4:5]
	s_waitcnt lgkmcnt(2)
	v_mul_f64 v[4:5], v[190:191], v[86:87]
	v_fma_f64 v[72:73], v[72:73], 2.0, -v[76:77]
	v_add_f64 v[78:79], v[74:75], -v[78:79]
	v_fma_f64 v[98:99], v[188:189], v[84:85], v[4:5]
	v_mul_f64 v[4:5], v[190:191], v[84:85]
	v_fma_f64 v[74:75], v[74:75], 2.0, -v[78:79]
	v_add_f64 v[84:85], v[80:81], -v[98:99]
	v_fma_f64 v[86:87], v[188:189], v[86:87], -v[4:5]
	s_waitcnt lgkmcnt(0)
	v_mul_f64 v[4:5], v[194:195], v[94:95]
	v_fma_f64 v[80:81], v[80:81], 2.0, -v[84:85]
	v_add_f64 v[86:87], v[82:83], -v[86:87]
	v_fma_f64 v[100:101], v[192:193], v[92:93], v[4:5]
	v_mul_f64 v[4:5], v[194:195], v[92:93]
	v_fma_f64 v[82:83], v[82:83], 2.0, -v[86:87]
	v_add_f64 v[92:93], v[88:89], -v[100:101]
	v_fma_f64 v[94:95], v[192:193], v[94:95], -v[4:5]
	v_add_f64 v[4:5], v[0:1], -v[18:19]
	v_fma_f64 v[88:89], v[88:89], 2.0, -v[92:93]
	v_add_f64 v[94:95], v[90:91], -v[94:95]
	v_fma_f64 v[0:1], v[0:1], 2.0, -v[4:5]
	v_fma_f64 v[90:91], v[90:91], 2.0, -v[94:95]
	ds_write_b128 v17, v[0:3]
	ds_write_b128 v246, v[4:7] offset:1792
	ds_write_b128 v246, v[8:11] offset:256
	;; [unrolled: 1-line block ×13, first 2 shown]
	s_waitcnt lgkmcnt(0)
	; wave barrier
	s_waitcnt lgkmcnt(0)
	ds_read_b128 v[0:3], v17
	v_mov_b32_e32 v8, s13
	s_waitcnt lgkmcnt(0)
	v_mul_f64 v[4:5], v[30:31], v[2:3]
	v_fma_f64 v[4:5], v[28:29], v[0:1], v[4:5]
	v_mul_f64 v[0:1], v[30:31], v[0:1]
	v_mul_f64 v[4:5], v[4:5], s[2:3]
	v_fma_f64 v[0:1], v[28:29], v[2:3], -v[0:1]
	v_mul_f64 v[6:7], v[0:1], s[2:3]
	v_mad_u64_u32 v[0:1], s[4:5], s0, v16, 0
	v_mad_u64_u32 v[1:2], s[4:5], s1, v16, v[1:2]
	buffer_load_dword v2, off, s[36:39], 0 offset:32 ; 4-byte Folded Reload
	buffer_load_dword v3, off, s[36:39], 0 offset:36 ; 4-byte Folded Reload
	s_lshl_b64 s[4:5], s[0:1], 9
	v_lshlrev_b64 v[0:1], 4, v[0:1]
	v_mov_b32_e32 v28, s5
	s_mulk_i32 s1, 0xf500
	s_waitcnt vmcnt(0)
	v_lshlrev_b64 v[2:3], 4, v[2:3]
	v_add_co_u32_e32 v2, vcc, s12, v2
	v_addc_co_u32_e32 v3, vcc, v8, v3, vcc
	v_add_co_u32_e32 v8, vcc, v2, v0
	v_addc_co_u32_e32 v9, vcc, v3, v1, vcc
	ds_read_b128 v[0:3], v246 offset:512
	global_store_dwordx4 v[8:9], v[4:7], off
	v_add_co_u32_e32 v8, vcc, s4, v8
	v_addc_co_u32_e32 v9, vcc, v9, v28, vcc
	s_waitcnt lgkmcnt(0)
	v_mul_f64 v[4:5], v[34:35], v[2:3]
	v_fma_f64 v[4:5], v[32:33], v[0:1], v[4:5]
	v_mul_f64 v[0:1], v[34:35], v[0:1]
	v_mul_f64 v[4:5], v[4:5], s[2:3]
	v_fma_f64 v[0:1], v[32:33], v[2:3], -v[0:1]
	v_mul_f64 v[6:7], v[0:1], s[2:3]
	ds_read_b128 v[0:3], v246 offset:1024
	global_store_dwordx4 v[8:9], v[4:7], off
	s_waitcnt lgkmcnt(0)
	v_mul_f64 v[4:5], v[38:39], v[2:3]
	v_add_co_u32_e32 v8, vcc, s4, v8
	v_addc_co_u32_e32 v9, vcc, v9, v28, vcc
	v_fma_f64 v[4:5], v[36:37], v[0:1], v[4:5]
	v_mul_f64 v[0:1], v[38:39], v[0:1]
	v_mul_f64 v[4:5], v[4:5], s[2:3]
	v_fma_f64 v[0:1], v[36:37], v[2:3], -v[0:1]
	v_mul_f64 v[6:7], v[0:1], s[2:3]
	ds_read_b128 v[0:3], v246 offset:1536
	global_store_dwordx4 v[8:9], v[4:7], off
	s_waitcnt lgkmcnt(0)
	v_mul_f64 v[4:5], v[42:43], v[2:3]
	v_add_co_u32_e32 v8, vcc, s4, v8
	v_addc_co_u32_e32 v9, vcc, v9, v28, vcc
	;; [unrolled: 11-line block ×5, first 2 shown]
	v_fma_f64 v[4:5], v[52:53], v[0:1], v[4:5]
	v_mul_f64 v[0:1], v[54:55], v[0:1]
	v_mul_f64 v[4:5], v[4:5], s[2:3]
	v_fma_f64 v[0:1], v[52:53], v[2:3], -v[0:1]
	v_mul_f64 v[6:7], v[0:1], s[2:3]
	ds_read_b128 v[0:3], v246 offset:256
	global_store_dwordx4 v[8:9], v[4:7], off
	s_waitcnt lgkmcnt(0)
	v_mul_f64 v[4:5], v[254:255], v[2:3]
	v_fma_f64 v[4:5], v[252:253], v[0:1], v[4:5]
	v_mul_f64 v[0:1], v[254:255], v[0:1]
	v_mul_f64 v[4:5], v[4:5], s[2:3]
	v_fma_f64 v[0:1], v[252:253], v[2:3], -v[0:1]
	v_mul_f64 v[6:7], v[0:1], s[2:3]
	v_mov_b32_e32 v0, 0xfffff500
	v_mad_u64_u32 v[8:9], s[6:7], s0, v0, v[8:9]
	s_sub_i32 s0, s1, s0
	ds_read_b128 v[0:3], v246 offset:768
	v_add_u32_e32 v9, s0, v9
	global_store_dwordx4 v[8:9], v[4:7], off
	buffer_load_dword v10, off, s[36:39], 0 offset:88 ; 4-byte Folded Reload
	buffer_load_dword v11, off, s[36:39], 0 offset:92 ; 4-byte Folded Reload
	buffer_load_dword v12, off, s[36:39], 0 offset:96 ; 4-byte Folded Reload
	buffer_load_dword v13, off, s[36:39], 0 offset:100 ; 4-byte Folded Reload
	v_add_co_u32_e32 v8, vcc, s4, v8
	v_addc_co_u32_e32 v9, vcc, v9, v28, vcc
	s_waitcnt vmcnt(0) lgkmcnt(0)
	v_mul_f64 v[4:5], v[12:13], v[2:3]
	v_fma_f64 v[4:5], v[10:11], v[0:1], v[4:5]
	v_mul_f64 v[0:1], v[12:13], v[0:1]
	v_mul_f64 v[4:5], v[4:5], s[2:3]
	v_fma_f64 v[0:1], v[10:11], v[2:3], -v[0:1]
	v_mul_f64 v[6:7], v[0:1], s[2:3]
	ds_read_b128 v[0:3], v246 offset:1280
	global_store_dwordx4 v[8:9], v[4:7], off
	buffer_load_dword v10, off, s[36:39], 0 offset:56 ; 4-byte Folded Reload
	buffer_load_dword v11, off, s[36:39], 0 offset:60 ; 4-byte Folded Reload
	buffer_load_dword v12, off, s[36:39], 0 offset:64 ; 4-byte Folded Reload
	buffer_load_dword v13, off, s[36:39], 0 offset:68 ; 4-byte Folded Reload
	v_add_co_u32_e32 v8, vcc, s4, v8
	v_addc_co_u32_e32 v9, vcc, v9, v28, vcc
	s_waitcnt vmcnt(0) lgkmcnt(0)
	v_mul_f64 v[4:5], v[12:13], v[2:3]
	v_fma_f64 v[4:5], v[10:11], v[0:1], v[4:5]
	v_mul_f64 v[0:1], v[12:13], v[0:1]
	v_mul_f64 v[4:5], v[4:5], s[2:3]
	v_fma_f64 v[0:1], v[10:11], v[2:3], -v[0:1]
	v_mul_f64 v[6:7], v[0:1], s[2:3]
	ds_read_b128 v[0:3], v246 offset:1792
	;; [unrolled: 15-line block ×4, first 2 shown]
	global_store_dwordx4 v[8:9], v[4:7], off
	buffer_load_dword v10, off, s[36:39], 0 ; 4-byte Folded Reload
	buffer_load_dword v11, off, s[36:39], 0 offset:4 ; 4-byte Folded Reload
	buffer_load_dword v12, off, s[36:39], 0 offset:8 ; 4-byte Folded Reload
	;; [unrolled: 1-line block ×3, first 2 shown]
	v_add_co_u32_e32 v8, vcc, s4, v8
	v_addc_co_u32_e32 v9, vcc, v9, v28, vcc
	s_waitcnt vmcnt(0) lgkmcnt(0)
	v_mul_f64 v[4:5], v[12:13], v[2:3]
	v_fma_f64 v[4:5], v[10:11], v[0:1], v[4:5]
	v_mul_f64 v[0:1], v[12:13], v[0:1]
	v_mul_f64 v[4:5], v[4:5], s[2:3]
	v_fma_f64 v[0:1], v[10:11], v[2:3], -v[0:1]
	v_mul_f64 v[6:7], v[0:1], s[2:3]
	ds_read_b128 v[0:3], v246 offset:3328
	global_store_dwordx4 v[8:9], v[4:7], off
	buffer_load_dword v10, off, s[36:39], 0 offset:72 ; 4-byte Folded Reload
	buffer_load_dword v11, off, s[36:39], 0 offset:76 ; 4-byte Folded Reload
	;; [unrolled: 1-line block ×4, first 2 shown]
	s_waitcnt vmcnt(0) lgkmcnt(0)
	v_mul_f64 v[4:5], v[12:13], v[2:3]
	v_fma_f64 v[4:5], v[10:11], v[0:1], v[4:5]
	v_mul_f64 v[0:1], v[12:13], v[0:1]
	v_mul_f64 v[4:5], v[4:5], s[2:3]
	v_fma_f64 v[0:1], v[10:11], v[2:3], -v[0:1]
	v_mul_f64 v[6:7], v[0:1], s[2:3]
	v_add_co_u32_e32 v0, vcc, s4, v8
	v_addc_co_u32_e32 v1, vcc, v9, v28, vcc
	global_store_dwordx4 v[0:1], v[4:7], off
.LBB0_2:
	s_endpgm
	.section	.rodata,"a",@progbits
	.p2align	6, 0x0
	.amdhsa_kernel bluestein_single_back_len224_dim1_dp_op_CI_CI
		.amdhsa_group_segment_fixed_size 14336
		.amdhsa_private_segment_fixed_size 176
		.amdhsa_kernarg_size 104
		.amdhsa_user_sgpr_count 6
		.amdhsa_user_sgpr_private_segment_buffer 1
		.amdhsa_user_sgpr_dispatch_ptr 0
		.amdhsa_user_sgpr_queue_ptr 0
		.amdhsa_user_sgpr_kernarg_segment_ptr 1
		.amdhsa_user_sgpr_dispatch_id 0
		.amdhsa_user_sgpr_flat_scratch_init 0
		.amdhsa_user_sgpr_private_segment_size 0
		.amdhsa_uses_dynamic_stack 0
		.amdhsa_system_sgpr_private_segment_wavefront_offset 1
		.amdhsa_system_sgpr_workgroup_id_x 1
		.amdhsa_system_sgpr_workgroup_id_y 0
		.amdhsa_system_sgpr_workgroup_id_z 0
		.amdhsa_system_sgpr_workgroup_info 0
		.amdhsa_system_vgpr_workitem_id 0
		.amdhsa_next_free_vgpr 256
		.amdhsa_next_free_sgpr 40
		.amdhsa_reserve_vcc 1
		.amdhsa_reserve_flat_scratch 0
		.amdhsa_float_round_mode_32 0
		.amdhsa_float_round_mode_16_64 0
		.amdhsa_float_denorm_mode_32 3
		.amdhsa_float_denorm_mode_16_64 3
		.amdhsa_dx10_clamp 1
		.amdhsa_ieee_mode 1
		.amdhsa_fp16_overflow 0
		.amdhsa_exception_fp_ieee_invalid_op 0
		.amdhsa_exception_fp_denorm_src 0
		.amdhsa_exception_fp_ieee_div_zero 0
		.amdhsa_exception_fp_ieee_overflow 0
		.amdhsa_exception_fp_ieee_underflow 0
		.amdhsa_exception_fp_ieee_inexact 0
		.amdhsa_exception_int_div_zero 0
	.end_amdhsa_kernel
	.text
.Lfunc_end0:
	.size	bluestein_single_back_len224_dim1_dp_op_CI_CI, .Lfunc_end0-bluestein_single_back_len224_dim1_dp_op_CI_CI
                                        ; -- End function
	.section	.AMDGPU.csdata,"",@progbits
; Kernel info:
; codeLenInByte = 15584
; NumSgprs: 44
; NumVgprs: 256
; ScratchSize: 176
; MemoryBound: 0
; FloatMode: 240
; IeeeMode: 1
; LDSByteSize: 14336 bytes/workgroup (compile time only)
; SGPRBlocks: 5
; VGPRBlocks: 63
; NumSGPRsForWavesPerEU: 44
; NumVGPRsForWavesPerEU: 256
; Occupancy: 1
; WaveLimiterHint : 1
; COMPUTE_PGM_RSRC2:SCRATCH_EN: 1
; COMPUTE_PGM_RSRC2:USER_SGPR: 6
; COMPUTE_PGM_RSRC2:TRAP_HANDLER: 0
; COMPUTE_PGM_RSRC2:TGID_X_EN: 1
; COMPUTE_PGM_RSRC2:TGID_Y_EN: 0
; COMPUTE_PGM_RSRC2:TGID_Z_EN: 0
; COMPUTE_PGM_RSRC2:TIDIG_COMP_CNT: 0
	.type	__hip_cuid_2b83fdc91209ae38,@object ; @__hip_cuid_2b83fdc91209ae38
	.section	.bss,"aw",@nobits
	.globl	__hip_cuid_2b83fdc91209ae38
__hip_cuid_2b83fdc91209ae38:
	.byte	0                               ; 0x0
	.size	__hip_cuid_2b83fdc91209ae38, 1

	.ident	"AMD clang version 19.0.0git (https://github.com/RadeonOpenCompute/llvm-project roc-6.4.0 25133 c7fe45cf4b819c5991fe208aaa96edf142730f1d)"
	.section	".note.GNU-stack","",@progbits
	.addrsig
	.addrsig_sym __hip_cuid_2b83fdc91209ae38
	.amdgpu_metadata
---
amdhsa.kernels:
  - .args:
      - .actual_access:  read_only
        .address_space:  global
        .offset:         0
        .size:           8
        .value_kind:     global_buffer
      - .actual_access:  read_only
        .address_space:  global
        .offset:         8
        .size:           8
        .value_kind:     global_buffer
      - .actual_access:  read_only
        .address_space:  global
        .offset:         16
        .size:           8
        .value_kind:     global_buffer
      - .actual_access:  read_only
        .address_space:  global
        .offset:         24
        .size:           8
        .value_kind:     global_buffer
      - .actual_access:  read_only
        .address_space:  global
        .offset:         32
        .size:           8
        .value_kind:     global_buffer
      - .offset:         40
        .size:           8
        .value_kind:     by_value
      - .address_space:  global
        .offset:         48
        .size:           8
        .value_kind:     global_buffer
      - .address_space:  global
        .offset:         56
        .size:           8
        .value_kind:     global_buffer
      - .address_space:  global
        .offset:         64
        .size:           8
        .value_kind:     global_buffer
      - .address_space:  global
        .offset:         72
        .size:           8
        .value_kind:     global_buffer
      - .offset:         80
        .size:           4
        .value_kind:     by_value
      - .address_space:  global
        .offset:         88
        .size:           8
        .value_kind:     global_buffer
      - .address_space:  global
        .offset:         96
        .size:           8
        .value_kind:     global_buffer
    .group_segment_fixed_size: 14336
    .kernarg_segment_align: 8
    .kernarg_segment_size: 104
    .language:       OpenCL C
    .language_version:
      - 2
      - 0
    .max_flat_workgroup_size: 64
    .name:           bluestein_single_back_len224_dim1_dp_op_CI_CI
    .private_segment_fixed_size: 176
    .sgpr_count:     44
    .sgpr_spill_count: 0
    .symbol:         bluestein_single_back_len224_dim1_dp_op_CI_CI.kd
    .uniform_work_group_size: 1
    .uses_dynamic_stack: false
    .vgpr_count:     256
    .vgpr_spill_count: 43
    .wavefront_size: 64
amdhsa.target:   amdgcn-amd-amdhsa--gfx906
amdhsa.version:
  - 1
  - 2
...

	.end_amdgpu_metadata
